;; amdgpu-corpus repo=ROCm/rocFFT kind=compiled arch=gfx906 opt=O3
	.text
	.amdgcn_target "amdgcn-amd-amdhsa--gfx906"
	.amdhsa_code_object_version 6
	.protected	bluestein_single_fwd_len630_dim1_sp_op_CI_CI ; -- Begin function bluestein_single_fwd_len630_dim1_sp_op_CI_CI
	.globl	bluestein_single_fwd_len630_dim1_sp_op_CI_CI
	.p2align	8
	.type	bluestein_single_fwd_len630_dim1_sp_op_CI_CI,@function
bluestein_single_fwd_len630_dim1_sp_op_CI_CI: ; @bluestein_single_fwd_len630_dim1_sp_op_CI_CI
; %bb.0:
	s_load_dwordx4 s[8:11], s[4:5], 0x28
	v_mul_u32_u24_e32 v1, 0x411, v0
	v_add_u32_sdwa v98, s6, v1 dst_sel:DWORD dst_unused:UNUSED_PAD src0_sel:DWORD src1_sel:WORD_1
	v_mov_b32_e32 v99, 0
	s_waitcnt lgkmcnt(0)
	v_cmp_gt_u64_e32 vcc, s[8:9], v[98:99]
	s_and_saveexec_b64 s[0:1], vcc
	s_cbranch_execz .LBB0_31
; %bb.1:
	s_load_dwordx4 s[12:15], s[4:5], 0x18
	v_mov_b32_e32 v2, 63
	v_mul_lo_u16_sdwa v1, v1, v2 dst_sel:DWORD dst_unused:UNUSED_PAD src0_sel:WORD_1 src1_sel:DWORD
	v_sub_u16_e32 v118, v0, v1
	v_lshlrev_b32_e32 v117, 3, v118
	s_waitcnt lgkmcnt(0)
	s_load_dwordx4 s[0:3], s[12:13], 0x0
	s_waitcnt lgkmcnt(0)
	v_mad_u64_u32 v[0:1], s[6:7], s2, v98, 0
	v_mad_u64_u32 v[2:3], s[6:7], s0, v118, 0
	s_load_dwordx2 s[12:13], s[4:5], 0x0
	s_mul_i32 s6, s1, 0xd2
	v_mad_u64_u32 v[4:5], s[2:3], s3, v98, v[1:2]
	s_mul_hi_u32 s7, s0, 0xd2
	s_add_i32 s7, s7, s6
	v_mad_u64_u32 v[5:6], s[2:3], s1, v118, v[3:4]
	v_mov_b32_e32 v1, v4
	v_lshlrev_b64 v[0:1], 3, v[0:1]
	v_mov_b32_e32 v6, s11
	v_mov_b32_e32 v3, v5
	v_add_co_u32_e32 v4, vcc, s10, v0
	v_addc_co_u32_e32 v5, vcc, v6, v1, vcc
	v_lshlrev_b64 v[0:1], 3, v[2:3]
	s_waitcnt lgkmcnt(0)
	v_mov_b32_e32 v2, s13
	v_add_co_u32_e32 v0, vcc, v4, v0
	v_add_co_u32_e64 v84, s[2:3], s12, v117
	s_mul_i32 s6, s0, 0xd2
	v_addc_co_u32_e32 v1, vcc, v5, v1, vcc
	v_addc_co_u32_e64 v85, vcc, 0, v2, s[2:3]
	s_lshl_b64 s[16:17], s[6:7], 3
	v_mov_b32_e32 v18, s17
	v_add_co_u32_e32 v2, vcc, s16, v0
	s_mul_hi_u32 s6, s0, 0xfffffe9b
	v_addc_co_u32_e32 v3, vcc, v1, v18, vcc
	s_mulk_i32 s1, 0xfe9b
	s_sub_i32 s6, s6, s0
	v_add_co_u32_e32 v4, vcc, s16, v2
	s_add_i32 s1, s6, s1
	s_mulk_i32 s0, 0xfe9b
	global_load_dwordx2 v[103:104], v117, s[12:13]
	global_load_dwordx2 v[101:102], v117, s[12:13] offset:1680
	global_load_dwordx2 v[96:97], v117, s[12:13] offset:3360
	v_addc_co_u32_e32 v5, vcc, v3, v18, vcc
	s_lshl_b64 s[18:19], s[0:1], 3
	v_mov_b32_e32 v16, s19
	v_add_co_u32_e32 v6, vcc, s18, v4
	v_addc_co_u32_e32 v7, vcc, v5, v16, vcc
	global_load_dwordx2 v[8:9], v[0:1], off
	global_load_dwordx2 v[10:11], v[2:3], off
	;; [unrolled: 1-line block ×4, first 2 shown]
	global_load_dwordx2 v[99:100], v117, s[12:13] offset:504
	v_add_co_u32_e32 v0, vcc, s16, v6
	v_addc_co_u32_e32 v1, vcc, v7, v18, vcc
	global_load_dwordx2 v[2:3], v[0:1], off
	global_load_dwordx2 v[94:95], v117, s[12:13] offset:2184
	v_add_co_u32_e32 v0, vcc, s16, v0
	v_addc_co_u32_e32 v1, vcc, v1, v18, vcc
	global_load_dwordx2 v[4:5], v[0:1], off
	;; [unrolled: 4-line block ×4, first 2 shown]
	global_load_dwordx2 v[88:89], v117, s[12:13] offset:2688
	v_add_co_u32_e32 v0, vcc, s16, v0
	v_addc_co_u32_e32 v1, vcc, v1, v18, vcc
	s_movk_i32 s0, 0x1000
	v_add_co_u32_e32 v20, vcc, s0, v84
	v_addc_co_u32_e32 v21, vcc, 0, v85, vcc
	global_load_dwordx2 v[18:19], v[0:1], off
	global_load_dwordx2 v[86:87], v[20:21], off offset:272
	s_load_dwordx2 s[6:7], s[4:5], 0x38
	s_load_dwordx4 s[8:11], s[14:15], 0x0
	v_cmp_gt_u16_e64 s[0:1], 21, v118
	s_waitcnt vmcnt(14)
	v_mul_f32_e32 v20, v9, v104
	v_fmac_f32_e32 v20, v8, v103
	v_mul_f32_e32 v8, v8, v104
	v_fma_f32 v21, v9, v103, -v8
	s_waitcnt vmcnt(13)
	v_mul_f32_e32 v8, v11, v102
	v_mul_f32_e32 v9, v10, v102
	v_fmac_f32_e32 v8, v10, v101
	v_fma_f32 v9, v11, v101, -v9
	ds_write_b64 v117, v[8:9] offset:1680
	s_waitcnt vmcnt(12)
	v_mul_f32_e32 v8, v13, v97
	v_mul_f32_e32 v9, v12, v97
	v_fmac_f32_e32 v8, v12, v96
	v_fma_f32 v9, v13, v96, -v9
	ds_write_b64 v117, v[8:9] offset:3360
	s_waitcnt vmcnt(10)
	v_mul_f32_e32 v8, v15, v100
	v_mul_f32_e32 v9, v14, v100
	v_fmac_f32_e32 v8, v14, v99
	v_fma_f32 v9, v15, v99, -v9
	ds_write2_b64 v117, v[20:21], v[8:9] offset1:63
	s_waitcnt vmcnt(8)
	v_mul_f32_e32 v9, v3, v95
	v_fmac_f32_e32 v9, v2, v94
	v_mul_f32_e32 v2, v2, v95
	v_fma_f32 v10, v3, v94, -v2
	s_waitcnt vmcnt(6)
	v_mul_f32_e32 v2, v5, v93
	v_mul_f32_e32 v3, v4, v93
	v_fmac_f32_e32 v2, v4, v92
	v_fma_f32 v3, v5, v92, -v3
	s_waitcnt vmcnt(4)
	v_mul_f32_e32 v4, v7, v91
	v_mul_f32_e32 v5, v6, v91
	v_fmac_f32_e32 v4, v6, v90
	v_fma_f32 v5, v7, v90, -v5
	ds_write_b64 v117, v[4:5] offset:1008
	s_waitcnt vmcnt(2)
	v_mul_f32_e32 v4, v17, v89
	v_mul_f32_e32 v5, v16, v89
	v_fmac_f32_e32 v4, v16, v88
	v_fma_f32 v5, v17, v88, -v5
	v_add_u32_e32 v8, 0x800, v117
	ds_write2_b64 v8, v[9:10], v[4:5] offset0:17 offset1:80
	s_waitcnt vmcnt(0)
	v_mul_f32_e32 v4, v19, v87
	v_mul_f32_e32 v5, v18, v87
	v_fmac_f32_e32 v4, v18, v86
	v_fma_f32 v5, v19, v86, -v5
	v_add_u32_e32 v6, 0xc00, v117
	ds_write2_b64 v6, v[2:3], v[4:5] offset0:99 offset1:162
	s_and_saveexec_b64 s[14:15], s[0:1]
	s_cbranch_execz .LBB0_3
; %bb.2:
	v_mov_b32_e32 v2, s19
	v_add_co_u32_e32 v0, vcc, s18, v0
	v_addc_co_u32_e32 v1, vcc, v1, v2, vcc
	global_load_dwordx2 v[2:3], v[0:1], off
	v_mov_b32_e32 v11, s17
	v_add_co_u32_e32 v0, vcc, s16, v0
	v_addc_co_u32_e32 v1, vcc, v1, v11, vcc
	global_load_dwordx2 v[4:5], v[0:1], off
	global_load_dwordx2 v[6:7], v[84:85], off offset:1512
	global_load_dwordx2 v[9:10], v[84:85], off offset:3192
	v_add_co_u32_e32 v0, vcc, s16, v0
	v_addc_co_u32_e32 v1, vcc, v1, v11, vcc
	v_add_co_u32_e32 v11, vcc, 0x1000, v84
	v_addc_co_u32_e32 v12, vcc, 0, v85, vcc
	global_load_dwordx2 v[13:14], v[11:12], off offset:776
	global_load_dwordx2 v[15:16], v[0:1], off
	v_add_u32_e32 v11, 0x500, v117
	s_waitcnt vmcnt(3)
	v_mul_f32_e32 v0, v3, v7
	v_mul_f32_e32 v1, v2, v7
	v_fmac_f32_e32 v0, v2, v6
	v_fma_f32 v1, v3, v6, -v1
	s_waitcnt vmcnt(2)
	v_mul_f32_e32 v2, v5, v10
	v_mul_f32_e32 v3, v4, v10
	v_fmac_f32_e32 v2, v4, v9
	v_fma_f32 v3, v5, v9, -v3
	ds_write2_b64 v11, v[0:1], v[2:3] offset0:29 offset1:239
	s_waitcnt vmcnt(0)
	v_mul_f32_e32 v4, v16, v14
	v_mul_f32_e32 v5, v15, v14
	v_fmac_f32_e32 v4, v15, v13
	v_fma_f32 v5, v16, v13, -v5
	ds_write_b64 v117, v[4:5] offset:4872
.LBB0_3:
	s_or_b64 exec, exec, s[14:15]
	s_waitcnt lgkmcnt(0)
	; wave barrier
	s_waitcnt lgkmcnt(0)
	ds_read2_b64 v[4:7], v117 offset1:63
	ds_read2_b64 v[0:3], v117 offset0:126 offset1:210
	ds_read2_b64 v[12:15], v8 offset0:164 offset1:227
	;; [unrolled: 1-line block ×3, first 2 shown]
	ds_read_b64 v[16:17], v117 offset:4368
                                        ; implicit-def: $vgpr30
                                        ; implicit-def: $vgpr19
	s_and_saveexec_b64 s[14:15], s[0:1]
	s_cbranch_execz .LBB0_5
; %bb.4:
	v_add_u32_e32 v18, 0x500, v117
	ds_read2_b64 v[28:31], v18 offset0:29 offset1:239
	ds_read_b64 v[19:20], v117 offset:4872
.LBB0_5:
	s_or_b64 exec, exec, s[14:15]
	s_waitcnt lgkmcnt(3)
	v_add_f32_e32 v18, v4, v2
	s_waitcnt lgkmcnt(2)
	v_add_f32_e32 v21, v18, v12
	v_add_f32_e32 v18, v2, v12
	v_fma_f32 v4, -0.5, v18, v4
	v_sub_f32_e32 v18, v3, v13
	v_mov_b32_e32 v23, v4
	v_fmac_f32_e32 v23, 0x3f5db3d7, v18
	v_fmac_f32_e32 v4, 0xbf5db3d7, v18
	v_add_f32_e32 v18, v5, v3
	v_add_f32_e32 v3, v3, v13
	v_fma_f32 v5, -0.5, v3, v5
	v_sub_f32_e32 v2, v2, v12
	v_mov_b32_e32 v24, v5
	s_waitcnt lgkmcnt(1)
	v_add_f32_e32 v3, v8, v14
	v_fmac_f32_e32 v24, 0xbf5db3d7, v2
	v_fmac_f32_e32 v5, 0x3f5db3d7, v2
	v_add_f32_e32 v2, v6, v8
	v_fma_f32 v6, -0.5, v3, v6
	v_sub_f32_e32 v3, v9, v15
	v_mov_b32_e32 v12, v6
	v_fmac_f32_e32 v12, 0x3f5db3d7, v3
	v_fmac_f32_e32 v6, 0xbf5db3d7, v3
	v_add_f32_e32 v3, v7, v9
	v_add_f32_e32 v9, v9, v15
	v_fmac_f32_e32 v7, -0.5, v9
	v_add_f32_e32 v22, v18, v13
	v_sub_f32_e32 v8, v8, v14
	v_mov_b32_e32 v13, v7
	s_waitcnt lgkmcnt(0)
	v_add_f32_e32 v9, v10, v16
	v_fmac_f32_e32 v13, 0xbf5db3d7, v8
	v_fmac_f32_e32 v7, 0x3f5db3d7, v8
	v_add_f32_e32 v8, v0, v10
	v_fma_f32 v0, -0.5, v9, v0
	v_add_f32_e32 v2, v2, v14
	v_sub_f32_e32 v9, v11, v17
	v_mov_b32_e32 v14, v0
	v_fmac_f32_e32 v14, 0x3f5db3d7, v9
	v_fmac_f32_e32 v0, 0xbf5db3d7, v9
	v_add_f32_e32 v9, v1, v11
	v_add_f32_e32 v11, v11, v17
	v_fmac_f32_e32 v1, -0.5, v11
	v_add_f32_e32 v3, v3, v15
	v_sub_f32_e32 v10, v10, v16
	v_mov_b32_e32 v15, v1
	v_fmac_f32_e32 v15, 0xbf5db3d7, v10
	v_fmac_f32_e32 v1, 0x3f5db3d7, v10
	v_add_f32_e32 v10, v30, v28
	v_add_f32_e32 v8, v8, v16
	;; [unrolled: 1-line block ×4, first 2 shown]
	v_fmac_f32_e32 v28, -0.5, v10
	v_sub_f32_e32 v10, v31, v20
	v_mov_b32_e32 v18, v28
	v_fmac_f32_e32 v18, 0x3f5db3d7, v10
	v_fmac_f32_e32 v28, 0xbf5db3d7, v10
	v_add_f32_e32 v10, v31, v29
	v_add_f32_e32 v9, v9, v17
	;; [unrolled: 1-line block ×4, first 2 shown]
	v_fmac_f32_e32 v29, -0.5, v10
	v_sub_f32_e32 v10, v30, v19
	v_mov_b32_e32 v19, v29
	v_fmac_f32_e32 v19, 0xbf5db3d7, v10
	v_fmac_f32_e32 v29, 0x3f5db3d7, v10
	v_mul_lo_u16_e32 v10, 3, v118
	s_load_dwordx2 s[14:15], s[4:5], 0x8
	v_add_co_u32_e32 v105, vcc, 63, v118
	v_lshlrev_b32_e32 v120, 3, v10
	s_waitcnt lgkmcnt(0)
	; wave barrier
	s_waitcnt lgkmcnt(0)
	ds_write2_b64 v120, v[21:22], v[23:24] offset1:1
	ds_write_b64 v120, v[4:5] offset:16
	v_mul_u32_u24_e32 v4, 3, v105
	v_add_co_u32_e32 v41, vcc, 0x7e, v118
	v_lshlrev_b32_e32 v121, 3, v4
	v_add_co_u32_e32 v40, vcc, 0xbd, v118
	ds_write2_b64 v121, v[2:3], v[12:13] offset1:1
	ds_write_b64 v121, v[6:7] offset:16
	v_mul_u32_u24_e32 v2, 3, v41
	v_lshlrev_b32_e32 v122, 3, v2
	v_mul_u32_u24_e32 v123, 3, v40
	ds_write2_b64 v122, v[8:9], v[14:15] offset1:1
	ds_write_b64 v122, v[0:1] offset:16
	s_and_saveexec_b64 s[4:5], s[0:1]
	s_cbranch_execz .LBB0_7
; %bb.6:
	v_lshlrev_b32_e32 v0, 3, v123
	ds_write2_b64 v0, v[16:17], v[18:19] offset1:1
	ds_write_b64 v0, v[28:29] offset:16
.LBB0_7:
	s_or_b64 exec, exec, s[4:5]
	v_add_u32_e32 v0, 0x800, v117
	s_waitcnt lgkmcnt(0)
	; wave barrier
	s_waitcnt lgkmcnt(0)
	ds_read2_b64 v[24:27], v117 offset1:63
	ds_read2_b64 v[20:23], v117 offset0:126 offset1:210
	ds_read2_b64 v[30:33], v0 offset0:164 offset1:227
	;; [unrolled: 1-line block ×3, first 2 shown]
	ds_read_b64 v[38:39], v117 offset:4368
	s_and_saveexec_b64 s[4:5], s[0:1]
	s_cbranch_execz .LBB0_9
; %bb.8:
	v_add_u32_e32 v0, 0x500, v117
	ds_read2_b64 v[16:19], v0 offset0:29 offset1:239
	ds_read_b64 v[28:29], v117 offset:4872
.LBB0_9:
	s_or_b64 exec, exec, s[4:5]
	s_movk_i32 s4, 0xab
	v_mul_lo_u16_sdwa v0, v118, s4 dst_sel:DWORD dst_unused:UNUSED_PAD src0_sel:BYTE_0 src1_sel:DWORD
	v_lshrrev_b16_e32 v42, 9, v0
	v_mul_lo_u16_e32 v0, 3, v42
	v_sub_u16_e32 v0, v118, v0
	v_and_b32_e32 v43, 0xff, v0
	v_mul_lo_u16_sdwa v0, v105, s4 dst_sel:DWORD dst_unused:UNUSED_PAD src0_sel:BYTE_0 src1_sel:DWORD
	v_lshrrev_b16_e32 v44, 9, v0
	v_mul_lo_u16_e32 v0, 3, v44
	v_sub_u16_e32 v0, v105, v0
	v_lshlrev_b32_e32 v8, 4, v43
	v_and_b32_e32 v45, 0xff, v0
	v_lshlrev_b32_e32 v9, 4, v45
	global_load_dwordx4 v[4:7], v8, s[14:15]
	global_load_dwordx4 v[0:3], v9, s[14:15]
	v_mul_lo_u16_sdwa v8, v41, s4 dst_sel:DWORD dst_unused:UNUSED_PAD src0_sel:BYTE_0 src1_sel:DWORD
	v_lshrrev_b16_e32 v46, 9, v8
	v_mul_lo_u16_e32 v8, 3, v46
	v_sub_u16_e32 v8, v41, v8
	v_mul_lo_u16_sdwa v9, v40, s4 dst_sel:DWORD dst_unused:UNUSED_PAD src0_sel:BYTE_0 src1_sel:DWORD
	v_and_b32_e32 v47, 0xff, v8
	v_lshrrev_b16_e32 v48, 9, v9
	v_lshlrev_b32_e32 v8, 4, v47
	v_mul_lo_u16_e32 v9, 3, v48
	global_load_dwordx4 v[12:15], v8, s[14:15]
	v_sub_u16_e32 v8, v40, v9
	v_and_b32_e32 v119, 0xff, v8
	v_lshlrev_b32_e32 v8, 4, v119
	global_load_dwordx4 v[8:11], v8, s[14:15]
	s_waitcnt lgkmcnt(0)
	; wave barrier
	s_waitcnt lgkmcnt(0)
	v_mul_u32_u24_e32 v127, 9, v48
	s_waitcnt vmcnt(3)
	v_mul_f32_e32 v50, v22, v5
	v_mul_f32_e32 v52, v30, v7
	;; [unrolled: 1-line block ×4, first 2 shown]
	s_waitcnt vmcnt(2)
	v_mul_f32_e32 v53, v35, v1
	v_mul_f32_e32 v56, v32, v3
	v_fmac_f32_e32 v50, v23, v4
	v_fmac_f32_e32 v52, v31, v6
	v_mul_f32_e32 v55, v33, v3
	v_fma_f32 v22, v22, v4, -v49
	v_fma_f32 v23, v30, v6, -v51
	s_waitcnt vmcnt(1)
	v_mul_f32_e32 v57, v37, v13
	v_fma_f32 v30, v34, v0, -v53
	v_fmac_f32_e32 v56, v33, v2
	v_add_f32_e32 v33, v50, v52
	s_waitcnt vmcnt(0)
	v_mul_f32_e32 v40, v18, v9
	v_mul_f32_e32 v62, v29, v11
	;; [unrolled: 1-line block ×7, first 2 shown]
	v_fma_f32 v31, v32, v2, -v55
	v_fma_f32 v49, v36, v12, -v57
	v_fmac_f32_e32 v40, v19, v8
	v_fma_f32 v19, v28, v10, -v62
	v_fmac_f32_e32 v41, v29, v10
	v_add_f32_e32 v28, v24, v22
	v_add_f32_e32 v29, v22, v23
	v_add_f32_e32 v32, v25, v50
	v_add_f32_e32 v36, v26, v30
	v_fma_f32 v25, -0.5, v33, v25
	v_mul_f32_e32 v60, v38, v15
	v_fmac_f32_e32 v54, v35, v0
	v_fmac_f32_e32 v58, v37, v12
	v_fma_f32 v37, v38, v14, -v59
	v_sub_f32_e32 v35, v22, v23
	v_add_f32_e32 v38, v30, v31
	v_sub_f32_e32 v53, v30, v31
	v_add_f32_e32 v22, v28, v23
	v_fma_f32 v24, -0.5, v29, v24
	v_add_f32_e32 v28, v36, v31
	v_mov_b32_e32 v31, v25
	v_sub_f32_e32 v34, v50, v52
	v_mov_b32_e32 v30, v24
	v_fmac_f32_e32 v25, 0x3f5db3d7, v35
	v_fmac_f32_e32 v31, 0xbf5db3d7, v35
	v_add_f32_e32 v35, v49, v37
	v_fmac_f32_e32 v60, v39, v14
	v_fmac_f32_e32 v24, 0xbf5db3d7, v34
	;; [unrolled: 1-line block ×3, first 2 shown]
	v_add_f32_e32 v34, v20, v49
	v_fma_f32 v20, -0.5, v35, v20
	v_fma_f32 v26, -0.5, v38, v26
	v_sub_f32_e32 v35, v58, v60
	v_mov_b32_e32 v36, v20
	v_add_f32_e32 v38, v58, v60
	v_fmac_f32_e32 v36, 0x3f5db3d7, v35
	v_fmac_f32_e32 v20, 0xbf5db3d7, v35
	v_add_f32_e32 v35, v21, v58
	v_fmac_f32_e32 v21, -0.5, v38
	v_fma_f32 v18, v18, v8, -v61
	v_add_f32_e32 v34, v34, v37
	v_sub_f32_e32 v38, v49, v37
	v_mov_b32_e32 v37, v21
	v_fmac_f32_e32 v37, 0xbf5db3d7, v38
	v_fmac_f32_e32 v21, 0x3f5db3d7, v38
	v_add_f32_e32 v38, v18, v19
	v_add_f32_e32 v35, v35, v60
	v_fma_f32 v60, -0.5, v38, v16
	v_sub_f32_e32 v38, v40, v41
	v_mov_b32_e32 v58, v60
	v_fmac_f32_e32 v58, 0x3f5db3d7, v38
	v_fmac_f32_e32 v60, 0xbf5db3d7, v38
	v_add_f32_e32 v38, v40, v41
	v_fma_f32 v61, -0.5, v38, v17
	v_sub_f32_e32 v38, v18, v19
	v_mov_b32_e32 v59, v61
	v_fmac_f32_e32 v59, 0xbf5db3d7, v38
	v_fmac_f32_e32 v61, 0x3f5db3d7, v38
	v_mul_u32_u24_e32 v38, 9, v42
	v_add_f32_e32 v51, v54, v56
	v_add_f32_e32 v23, v32, v52
	v_add_lshl_u32 v125, v38, v43, 3
	v_add_f32_e32 v50, v27, v54
	v_fmac_f32_e32 v27, -0.5, v51
	ds_write2_b64 v125, v[22:23], v[30:31] offset1:3
	ds_write_b64 v125, v[24:25] offset:48
	v_mul_u32_u24_e32 v22, 9, v44
	v_sub_f32_e32 v39, v54, v56
	v_mov_b32_e32 v32, v26
	v_mov_b32_e32 v33, v27
	v_add_lshl_u32 v126, v22, v45, 3
	v_mul_u32_u24_e32 v22, 9, v46
	v_add_f32_e32 v29, v50, v56
	v_fmac_f32_e32 v32, 0x3f5db3d7, v39
	v_fmac_f32_e32 v33, 0xbf5db3d7, v53
	v_add_lshl_u32 v128, v22, v47, 3
	v_fmac_f32_e32 v26, 0xbf5db3d7, v39
	v_fmac_f32_e32 v27, 0x3f5db3d7, v53
	ds_write2_b64 v126, v[28:29], v[32:33] offset1:3
	ds_write_b64 v126, v[26:27] offset:48
	ds_write2_b64 v128, v[34:35], v[36:37] offset1:3
	ds_write_b64 v128, v[20:21] offset:48
	s_and_saveexec_b64 s[4:5], s[0:1]
	s_cbranch_execz .LBB0_11
; %bb.10:
	v_add_f32_e32 v17, v17, v40
	v_add_f32_e32 v16, v16, v18
	v_add_f32_e32 v17, v17, v41
	v_add_f32_e32 v16, v16, v19
	v_add_lshl_u32 v18, v127, v119, 3
	ds_write2_b64 v18, v[16:17], v[58:59] offset1:3
	ds_write_b64 v18, v[60:61] offset:48
.LBB0_11:
	s_or_b64 exec, exec, s[4:5]
	v_mov_b32_e32 v16, 57
	v_mul_lo_u16_sdwa v17, v118, v16 dst_sel:DWORD dst_unused:UNUSED_PAD src0_sel:BYTE_0 src1_sel:DWORD
	v_lshrrev_b16_e32 v52, 9, v17
	v_mul_lo_u16_e32 v17, 9, v52
	v_mul_lo_u16_sdwa v16, v105, v16 dst_sel:DWORD dst_unused:UNUSED_PAD src0_sel:BYTE_0 src1_sel:DWORD
	v_sub_u16_e32 v17, v118, v17
	v_lshrrev_b16_e32 v54, 9, v16
	v_and_b32_e32 v53, 0xff, v17
	v_mul_lo_u16_e32 v16, 9, v54
	v_lshlrev_b32_e32 v17, 5, v53
	v_sub_u16_e32 v16, v105, v16
	s_waitcnt lgkmcnt(0)
	; wave barrier
	s_waitcnt lgkmcnt(0)
	global_load_dwordx4 v[32:35], v17, s[14:15] offset:48
	global_load_dwordx4 v[28:31], v17, s[14:15] offset:64
	v_and_b32_e32 v55, 0xff, v16
	v_lshlrev_b32_e32 v16, 5, v55
	global_load_dwordx4 v[40:43], v16, s[14:15] offset:48
	global_load_dwordx4 v[36:39], v16, s[14:15] offset:64
	v_add_u32_e32 v17, 0x400, v117
	ds_read2_b64 v[64:67], v117 offset1:63
	ds_read2_b64 v[18:21], v117 offset0:126 offset1:189
	v_add_u32_e32 v62, 0x800, v117
	v_add_u32_e32 v16, 0xc00, v117
	ds_read2_b64 v[22:25], v17 offset0:124 offset1:187
	ds_read2_b64 v[44:47], v62 offset0:122 offset1:185
	;; [unrolled: 1-line block ×3, first 2 shown]
	s_waitcnt lgkmcnt(0)
	; wave barrier
	s_waitcnt lgkmcnt(0)
	v_cmp_gt_u16_e64 s[4:5], 27, v118
	s_waitcnt vmcnt(3)
	v_mul_f32_e32 v26, v19, v33
	v_mul_f32_e32 v56, v18, v33
	;; [unrolled: 1-line block ×4, first 2 shown]
	s_waitcnt vmcnt(2)
	v_mul_f32_e32 v63, v45, v29
	v_mul_f32_e32 v69, v49, v31
	;; [unrolled: 1-line block ×4, first 2 shown]
	s_waitcnt vmcnt(1)
	v_mul_f32_e32 v71, v21, v41
	v_mul_f32_e32 v73, v25, v43
	v_fma_f32 v79, v18, v32, -v26
	v_fmac_f32_e32 v56, v19, v32
	v_fma_f32 v80, v22, v34, -v27
	v_fmac_f32_e32 v57, v23, v34
	v_fma_f32 v44, v44, v28, -v63
	v_fma_f32 v23, v48, v30, -v69
	v_mul_f32_e32 v72, v20, v41
	v_mul_f32_e32 v74, v24, v43
	s_waitcnt vmcnt(0)
	v_mul_f32_e32 v75, v47, v37
	v_mul_f32_e32 v76, v46, v37
	v_mul_f32_e32 v77, v51, v39
	v_mul_f32_e32 v78, v50, v39
	v_fmac_f32_e32 v68, v45, v28
	v_fmac_f32_e32 v70, v49, v30
	v_fma_f32 v48, v20, v40, -v71
	v_fma_f32 v49, v24, v42, -v73
	v_add_f32_e32 v18, v64, v79
	v_add_f32_e32 v19, v80, v44
	v_sub_f32_e32 v20, v79, v80
	v_sub_f32_e32 v22, v23, v44
	v_add_f32_e32 v24, v79, v23
	v_sub_f32_e32 v26, v80, v79
	v_sub_f32_e32 v27, v44, v23
	v_add_f32_e32 v45, v65, v56
	v_fma_f32 v63, v46, v36, -v75
	v_fmac_f32_e32 v76, v47, v36
	v_fma_f32 v47, v50, v38, -v77
	v_fmac_f32_e32 v78, v51, v38
	v_add_f32_e32 v46, v57, v68
	v_add_f32_e32 v50, v18, v80
	v_fma_f32 v18, -0.5, v19, v64
	v_add_f32_e32 v51, v20, v22
	v_fma_f32 v20, -0.5, v24, v64
	v_add_f32_e32 v64, v26, v27
	v_add_f32_e32 v26, v45, v57
	v_fmac_f32_e32 v72, v21, v40
	v_fmac_f32_e32 v74, v25, v42
	v_sub_f32_e32 v21, v56, v70
	v_sub_f32_e32 v25, v57, v68
	v_fma_f32 v19, -0.5, v46, v65
	v_add_f32_e32 v27, v50, v44
	v_mov_b32_e32 v22, v18
	v_mov_b32_e32 v24, v20
	v_add_f32_e32 v45, v26, v68
	v_fmac_f32_e32 v18, 0xbf737871, v21
	v_fmac_f32_e32 v20, 0x3f737871, v25
	v_add_f32_e32 v26, v27, v23
	v_fmac_f32_e32 v22, 0x3f737871, v21
	v_fmac_f32_e32 v24, 0xbf737871, v25
	v_add_f32_e32 v27, v45, v70
	v_sub_f32_e32 v45, v79, v23
	v_mov_b32_e32 v23, v19
	v_fmac_f32_e32 v18, 0xbf167918, v25
	v_fmac_f32_e32 v20, 0xbf167918, v21
	;; [unrolled: 1-line block ×5, first 2 shown]
	v_sub_f32_e32 v44, v80, v44
	v_sub_f32_e32 v21, v56, v57
	;; [unrolled: 1-line block ×3, first 2 shown]
	v_fmac_f32_e32 v19, 0x3f737871, v45
	v_fmac_f32_e32 v23, 0xbf167918, v44
	v_add_f32_e32 v21, v21, v25
	v_fmac_f32_e32 v19, 0x3f167918, v44
	v_fmac_f32_e32 v23, 0x3e9e377a, v21
	;; [unrolled: 1-line block ×3, first 2 shown]
	v_add_f32_e32 v21, v56, v70
	v_fma_f32 v21, -0.5, v21, v65
	v_mov_b32_e32 v25, v21
	v_fmac_f32_e32 v25, 0x3f737871, v44
	v_fmac_f32_e32 v21, 0xbf737871, v44
	;; [unrolled: 1-line block ×3, first 2 shown]
	v_sub_f32_e32 v46, v57, v56
	v_sub_f32_e32 v50, v68, v70
	v_fmac_f32_e32 v21, 0x3f167918, v45
	v_add_f32_e32 v45, v49, v63
	v_add_f32_e32 v46, v46, v50
	v_fma_f32 v56, -0.5, v45, v66
	v_fmac_f32_e32 v25, 0x3e9e377a, v46
	v_fmac_f32_e32 v21, 0x3e9e377a, v46
	v_sub_f32_e32 v45, v72, v78
	v_mov_b32_e32 v46, v56
	v_fmac_f32_e32 v18, 0x3e9e377a, v51
	v_fmac_f32_e32 v22, 0x3e9e377a, v51
	v_fmac_f32_e32 v46, 0x3f737871, v45
	v_sub_f32_e32 v50, v74, v76
	v_sub_f32_e32 v51, v48, v49
	;; [unrolled: 1-line block ×3, first 2 shown]
	v_fmac_f32_e32 v56, 0xbf737871, v45
	v_fmac_f32_e32 v46, 0x3f167918, v50
	v_add_f32_e32 v51, v51, v57
	v_fmac_f32_e32 v56, 0xbf167918, v50
	v_fmac_f32_e32 v46, 0x3e9e377a, v51
	;; [unrolled: 1-line block ×3, first 2 shown]
	v_add_f32_e32 v51, v48, v47
	v_add_f32_e32 v44, v66, v48
	v_fma_f32 v66, -0.5, v51, v66
	v_fmac_f32_e32 v20, 0x3e9e377a, v64
	v_fmac_f32_e32 v24, 0x3e9e377a, v64
	v_mov_b32_e32 v64, v66
	v_add_f32_e32 v44, v44, v49
	v_fmac_f32_e32 v64, 0xbf737871, v50
	v_sub_f32_e32 v51, v49, v48
	v_sub_f32_e32 v57, v63, v47
	v_fmac_f32_e32 v66, 0x3f737871, v50
	v_add_f32_e32 v50, v74, v76
	v_add_f32_e32 v44, v44, v63
	;; [unrolled: 1-line block ×3, first 2 shown]
	v_fma_f32 v57, -0.5, v50, v67
	v_add_f32_e32 v44, v44, v47
	v_fmac_f32_e32 v64, 0x3f167918, v45
	v_fmac_f32_e32 v66, 0xbf167918, v45
	v_sub_f32_e32 v48, v48, v47
	v_mov_b32_e32 v47, v57
	v_fmac_f32_e32 v64, 0x3e9e377a, v51
	v_fmac_f32_e32 v66, 0x3e9e377a, v51
	;; [unrolled: 1-line block ×3, first 2 shown]
	v_sub_f32_e32 v49, v49, v63
	v_sub_f32_e32 v50, v72, v74
	;; [unrolled: 1-line block ×3, first 2 shown]
	v_fmac_f32_e32 v57, 0x3f737871, v48
	v_fmac_f32_e32 v47, 0xbf167918, v49
	v_add_f32_e32 v50, v50, v51
	v_fmac_f32_e32 v57, 0x3f167918, v49
	v_fmac_f32_e32 v47, 0x3e9e377a, v50
	;; [unrolled: 1-line block ×3, first 2 shown]
	v_add_f32_e32 v50, v72, v78
	v_add_f32_e32 v45, v67, v72
	v_fmac_f32_e32 v67, -0.5, v50
	v_mov_b32_e32 v65, v67
	v_fmac_f32_e32 v65, 0x3f737871, v49
	v_fmac_f32_e32 v67, 0xbf737871, v49
	;; [unrolled: 1-line block ×4, first 2 shown]
	v_mul_u32_u24_e32 v48, 45, v52
	v_add_f32_e32 v45, v45, v74
	v_add_lshl_u32 v129, v48, v53, 3
	v_add_f32_e32 v45, v45, v76
	v_sub_f32_e32 v50, v74, v72
	v_sub_f32_e32 v51, v76, v78
	ds_write2_b64 v129, v[26:27], v[22:23] offset1:9
	ds_write2_b64 v129, v[24:25], v[20:21] offset0:18 offset1:27
	ds_write_b64 v129, v[18:19] offset:288
	v_mul_u32_u24_e32 v18, 45, v54
	v_add_f32_e32 v45, v45, v78
	v_add_f32_e32 v50, v50, v51
	v_add_lshl_u32 v130, v18, v55, 3
	v_fmac_f32_e32 v65, 0x3e9e377a, v50
	v_fmac_f32_e32 v67, 0x3e9e377a, v50
	ds_write2_b64 v130, v[44:45], v[46:47] offset1:9
	ds_write2_b64 v130, v[64:65], v[66:67] offset0:18 offset1:27
	ds_write_b64 v130, v[56:57] offset:288
	s_waitcnt lgkmcnt(0)
	; wave barrier
	s_waitcnt lgkmcnt(0)
	ds_read2_b64 v[68:71], v117 offset1:90
	ds_read2_b64 v[76:79], v17 offset0:52 offset1:142
	ds_read2_b64 v[72:75], v62 offset0:104 offset1:194
	ds_read_b64 v[82:83], v117 offset:4320
                                        ; implicit-def: $vgpr80
	s_and_saveexec_b64 s[16:17], s[4:5]
	s_cbranch_execz .LBB0_13
; %bb.12:
	ds_read2_b64 v[64:67], v117 offset0:63 offset1:153
	ds_read2_b64 v[56:59], v17 offset0:115 offset1:205
	;; [unrolled: 1-line block ×3, first 2 shown]
	ds_read_b64 v[80:81], v117 offset:4824
.LBB0_13:
	s_or_b64 exec, exec, s[16:17]
	v_subrev_u32_e32 v16, 45, v118
	v_cmp_gt_u16_e32 vcc, 45, v118
	v_cndmask_b32_e32 v108, v16, v118, vcc
	v_mul_i32_i24_e32 v16, 48, v108
	v_mul_hi_i32_i24_e32 v17, 48, v108
	v_mov_b32_e32 v18, s15
	v_add_co_u32_e32 v16, vcc, s14, v16
	v_addc_co_u32_e32 v17, vcc, v18, v17, vcc
	s_movk_i32 s12, 0x6d
	global_load_dwordx4 v[52:55], v[16:17], off offset:336
	global_load_dwordx4 v[48:51], v[16:17], off offset:352
	;; [unrolled: 1-line block ×3, first 2 shown]
	v_mul_lo_u16_sdwa v16, v105, s12 dst_sel:DWORD dst_unused:UNUSED_PAD src0_sel:BYTE_0 src1_sel:DWORD
	v_sub_u16_sdwa v17, v105, v16 dst_sel:DWORD dst_unused:UNUSED_PAD src0_sel:DWORD src1_sel:BYTE_1
	v_lshrrev_b16_e32 v17, 1, v17
	v_and_b32_e32 v17, 0x7f, v17
	v_add_u16_sdwa v16, v17, v16 dst_sel:DWORD dst_unused:UNUSED_PAD src0_sel:DWORD src1_sel:BYTE_1
	v_lshrrev_b16_e32 v16, 5, v16
	v_mul_lo_u16_e32 v16, 45, v16
	v_sub_u16_e32 v124, v105, v16
	v_and_b32_e32 v105, 0xff, v124
	v_mad_u64_u32 v[106:107], s[16:17], v105, 48, s[14:15]
	global_load_dwordx4 v[16:19], v[106:107], off offset:336
	global_load_dwordx4 v[24:27], v[106:107], off offset:352
	;; [unrolled: 1-line block ×3, first 2 shown]
	s_mov_b32 s12, 0x3f5ff5aa
	s_mov_b32 s16, 0x3f3bfb3b
	;; [unrolled: 1-line block ×4, first 2 shown]
	v_cmp_lt_u16_e32 vcc, 44, v118
	s_waitcnt lgkmcnt(0)
	; wave barrier
	s_waitcnt vmcnt(5) lgkmcnt(0)
	v_mul_f32_e32 v106, v71, v53
	v_mul_f32_e32 v107, v70, v53
	;; [unrolled: 1-line block ×3, first 2 shown]
	s_waitcnt vmcnt(4)
	v_mul_f32_e32 v114, v72, v51
	s_waitcnt vmcnt(3)
	v_mul_f32_e32 v115, v75, v45
	v_mul_f32_e32 v131, v83, v47
	v_mul_f32_e32 v110, v76, v55
	v_mul_f32_e32 v111, v79, v49
	v_mul_f32_e32 v113, v73, v51
	v_mul_f32_e32 v116, v74, v45
	v_mul_f32_e32 v132, v82, v47
	v_fma_f32 v70, v70, v52, -v106
	v_fmac_f32_e32 v107, v71, v52
	v_fma_f32 v71, v76, v54, -v109
	v_fmac_f32_e32 v114, v73, v50
	v_fma_f32 v73, v74, v44, -v115
	v_fma_f32 v74, v82, v46, -v131
	v_mul_f32_e32 v112, v78, v49
	v_fmac_f32_e32 v110, v77, v54
	v_fma_f32 v76, v78, v48, -v111
	v_fma_f32 v72, v72, v50, -v113
	v_fmac_f32_e32 v116, v75, v44
	v_fmac_f32_e32 v132, v83, v46
	v_add_f32_e32 v75, v70, v74
	v_add_f32_e32 v78, v71, v73
	v_fmac_f32_e32 v112, v79, v48
	v_add_f32_e32 v77, v107, v132
	v_add_f32_e32 v79, v110, v116
	;; [unrolled: 1-line block ×4, first 2 shown]
	v_sub_f32_e32 v70, v70, v74
	v_sub_f32_e32 v74, v107, v132
	;; [unrolled: 1-line block ×3, first 2 shown]
	v_add_f32_e32 v83, v112, v114
	v_sub_f32_e32 v72, v72, v76
	v_sub_f32_e32 v76, v114, v112
	v_add_f32_e32 v107, v79, v77
	v_sub_f32_e32 v109, v78, v75
	v_sub_f32_e32 v75, v75, v82
	;; [unrolled: 1-line block ×3, first 2 shown]
	s_waitcnt vmcnt(2)
	v_mul_f32_e32 v114, v56, v19
	s_waitcnt vmcnt(1)
	v_mul_f32_e32 v115, v59, v25
	v_mul_f32_e32 v131, v61, v27
	;; [unrolled: 1-line block ×3, first 2 shown]
	s_waitcnt vmcnt(0)
	v_mul_f32_e32 v134, v62, v21
	v_mul_f32_e32 v135, v81, v23
	v_add_f32_e32 v82, v82, v106
	v_sub_f32_e32 v73, v110, v116
	v_sub_f32_e32 v110, v79, v77
	;; [unrolled: 1-line block ×4, first 2 shown]
	v_mul_f32_e32 v112, v66, v17
	v_mul_f32_e32 v113, v57, v19
	;; [unrolled: 1-line block ×5, first 2 shown]
	v_fmac_f32_e32 v114, v57, v18
	v_fma_f32 v57, v58, v24, -v115
	v_fma_f32 v58, v60, v26, -v131
	v_fmac_f32_e32 v132, v61, v26
	v_fmac_f32_e32 v134, v63, v20
	v_fma_f32 v60, v80, v22, -v135
	v_add_f32_e32 v61, v72, v71
	v_sub_f32_e32 v63, v72, v71
	v_sub_f32_e32 v80, v70, v72
	v_add_f32_e32 v83, v83, v107
	v_add_f32_e32 v72, v68, v82
	v_mul_f32_e32 v111, v67, v17
	v_fmac_f32_e32 v112, v67, v16
	v_fmac_f32_e32 v116, v59, v24
	v_fma_f32 v59, v62, v20, -v133
	v_fmac_f32_e32 v136, v81, v22
	v_add_f32_e32 v62, v76, v73
	v_sub_f32_e32 v67, v76, v73
	v_sub_f32_e32 v71, v71, v70
	;; [unrolled: 1-line block ×3, first 2 shown]
	v_add_f32_e32 v73, v69, v83
	v_mov_b32_e32 v106, v72
	v_sub_f32_e32 v76, v74, v76
	v_add_f32_e32 v61, v61, v70
	v_mul_f32_e32 v68, 0x3f4a47b2, v75
	v_mul_f32_e32 v69, 0x3f4a47b2, v77
	;; [unrolled: 1-line block ×7, first 2 shown]
	v_fmac_f32_e32 v106, 0xbf955555, v82
	v_mov_b32_e32 v82, v73
	v_fma_f32 v66, v66, v16, -v111
	v_fma_f32 v56, v56, v18, -v113
	v_add_f32_e32 v62, v62, v74
	v_mul_f32_e32 v74, 0x3d64c772, v79
	v_fmac_f32_e32 v82, 0xbf955555, v83
	v_fma_f32 v70, v109, s16, -v70
	v_fma_f32 v83, v109, s17, -v68
	v_fmac_f32_e32 v68, 0x3d64c772, v78
	v_fma_f32 v78, v110, s17, -v69
	v_fma_f32 v71, v71, s12, -v63
	v_fmac_f32_e32 v63, 0x3eae86e6, v80
	v_fma_f32 v81, v81, s12, -v67
	v_fmac_f32_e32 v67, 0x3eae86e6, v76
	v_fma_f32 v107, v80, s18, -v75
	v_fma_f32 v109, v76, s18, -v77
	;; [unrolled: 1-line block ×3, first 2 shown]
	v_fmac_f32_e32 v69, 0x3d64c772, v79
	v_add_f32_e32 v68, v68, v106
	v_add_f32_e32 v70, v70, v106
	;; [unrolled: 1-line block ×4, first 2 shown]
	v_fmac_f32_e32 v63, 0x3ee1c552, v61
	v_fmac_f32_e32 v67, 0x3ee1c552, v62
	;; [unrolled: 1-line block ×6, first 2 shown]
	v_add_f32_e32 v61, v66, v60
	v_sub_f32_e32 v60, v66, v60
	v_add_f32_e32 v66, v56, v59
	v_add_f32_e32 v69, v69, v82
	;; [unrolled: 1-line block ×5, first 2 shown]
	v_sub_f32_e32 v77, v106, v107
	v_sub_f32_e32 v78, v70, v81
	v_add_f32_e32 v80, v81, v70
	v_sub_f32_e32 v82, v83, v109
	v_add_f32_e32 v83, v107, v106
	;; [unrolled: 2-line block ×3, first 2 shown]
	v_add_f32_e32 v67, v114, v134
	v_sub_f32_e32 v56, v56, v59
	v_add_f32_e32 v68, v57, v58
	v_sub_f32_e32 v57, v58, v57
	;; [unrolled: 2-line block ×7, first 2 shown]
	v_sub_f32_e32 v111, v61, v68
	v_sub_f32_e32 v66, v68, v66
	v_add_f32_e32 v61, v57, v56
	v_add_f32_e32 v68, v68, v70
	v_sub_f32_e32 v63, v112, v136
	v_sub_f32_e32 v110, v67, v62
	;; [unrolled: 1-line block ×8, first 2 shown]
	v_add_f32_e32 v69, v69, v71
	v_add_f32_e32 v115, v61, v60
	;; [unrolled: 1-line block ×4, first 2 shown]
	v_sub_f32_e32 v59, v59, v63
	v_add_f32_e32 v61, v65, v69
	v_mul_f32_e32 v70, 0x3f4a47b2, v111
	v_mul_f32_e32 v71, 0x3d64c772, v66
	;; [unrolled: 1-line block ×3, first 2 shown]
	v_mov_b32_e32 v114, v60
	v_sub_f32_e32 v58, v63, v58
	v_add_f32_e32 v63, v112, v63
	v_mul_f32_e32 v62, 0x3f4a47b2, v62
	v_mul_f32_e32 v111, 0x3d64c772, v67
	;; [unrolled: 1-line block ×5, first 2 shown]
	v_fmac_f32_e32 v114, 0xbf955555, v68
	v_mov_b32_e32 v116, v61
	v_fma_f32 v71, v109, s16, -v71
	v_fma_f32 v109, v109, s17, -v70
	v_fmac_f32_e32 v70, 0x3d64c772, v66
	v_fmac_f32_e32 v116, 0xbf955555, v69
	v_fma_f32 v111, v110, s16, -v111
	v_fma_f32 v110, v110, s17, -v62
	v_fmac_f32_e32 v62, 0x3d64c772, v67
	v_fma_f32 v131, v56, s12, -v64
	v_fmac_f32_e32 v64, 0x3eae86e6, v57
	v_fma_f32 v56, v59, s12, -v65
	v_fmac_f32_e32 v65, 0x3eae86e6, v58
	v_fma_f32 v67, v57, s18, -v112
	v_fma_f32 v68, v58, s18, -v113
	v_add_f32_e32 v66, v70, v114
	v_add_f32_e32 v70, v109, v114
	v_mov_b32_e32 v109, 0x13b
	v_add_f32_e32 v69, v62, v116
	v_add_f32_e32 v57, v71, v114
	;; [unrolled: 1-line block ×4, first 2 shown]
	v_fmac_f32_e32 v64, 0x3ee1c552, v115
	v_fmac_f32_e32 v65, 0x3ee1c552, v63
	;; [unrolled: 1-line block ×6, first 2 shown]
	v_cndmask_b32_e32 v109, 0, v109, vcc
	v_sub_f32_e32 v62, v57, v56
	v_add_f32_e32 v63, v131, v58
	v_add_f32_e32 v56, v56, v57
	v_sub_f32_e32 v57, v58, v131
	v_sub_f32_e32 v58, v70, v68
	v_add_f32_e32 v59, v67, v71
	v_sub_f32_e32 v115, v66, v65
	v_add_f32_e32 v116, v64, v69
	v_add_lshl_u32 v131, v108, v109, 3
	ds_write2_b64 v131, v[72:73], v[74:75] offset1:45
	ds_write2_b64 v131, v[76:77], v[78:79] offset0:90 offset1:135
	ds_write2_b64 v131, v[80:81], v[82:83] offset0:180 offset1:225
	ds_write_b64 v131, v[106:107] offset:2160
	s_and_saveexec_b64 s[16:17], s[4:5]
	s_cbranch_execz .LBB0_15
; %bb.14:
	v_sub_f32_e32 v71, v71, v67
	v_sub_f32_e32 v67, v69, v64
	v_lshlrev_b32_e32 v64, 3, v105
	v_add_f32_e32 v66, v65, v66
	v_add_u32_e32 v65, 0x800, v64
	v_add_f32_e32 v70, v68, v70
	ds_write2_b64 v65, v[60:61], v[66:67] offset0:59 offset1:104
	ds_write2_b64 v65, v[70:71], v[62:63] offset0:149 offset1:194
	v_add_u32_e32 v60, 0xc00, v64
	ds_write2_b64 v60, v[56:57], v[58:59] offset0:111 offset1:156
	ds_write_b64 v64, v[115:116] offset:4680
.LBB0_15:
	s_or_b64 exec, exec, s[16:17]
	v_mov_b32_e32 v60, s15
	v_add_co_u32_e32 v61, vcc, s14, v117
	s_movk_i32 s12, 0x1000
	v_addc_co_u32_e32 v64, vcc, 0, v60, vcc
	v_add_co_u32_e32 v60, vcc, s12, v61
	s_waitcnt lgkmcnt(0)
	; wave barrier
	s_waitcnt lgkmcnt(0)
	global_load_dwordx2 v[105:106], v117, s[14:15] offset:2496
	global_load_dwordx2 v[107:108], v117, s[14:15] offset:3000
	;; [unrolled: 1-line block ×4, first 2 shown]
	v_addc_co_u32_e32 v61, vcc, 0, v64, vcc
	global_load_dwordx2 v[113:114], v[60:61], off offset:416
	v_add_u32_e32 v146, 0x400, v117
	ds_read2_b64 v[67:70], v117 offset1:63
	v_add_u32_e32 v66, 0x800, v117
	ds_read2_b64 v[71:74], v117 offset0:126 offset1:189
	v_add_u32_e32 v147, 0xc00, v117
	ds_read2_b64 v[75:78], v146 offset0:124 offset1:187
	ds_read2_b64 v[79:82], v66 offset0:122 offset1:185
	;; [unrolled: 1-line block ×3, first 2 shown]
	v_mov_b32_e32 v60, s13
	v_addc_co_u32_e64 v83, vcc, 0, v60, s[2:3]
	s_movk_i32 s13, 0x13b0
	v_add_co_u32_e32 v64, vcc, s13, v84
	v_addc_co_u32_e32 v65, vcc, 0, v83, vcc
	v_add_co_u32_e32 v136, vcc, s12, v84
	v_addc_co_u32_e32 v137, vcc, 0, v83, vcc
	s_waitcnt vmcnt(4) lgkmcnt(2)
	v_mul_f32_e32 v60, v78, v106
	v_mul_f32_e32 v61, v77, v106
	s_waitcnt vmcnt(3) lgkmcnt(1)
	v_mul_f32_e32 v138, v80, v108
	v_mul_f32_e32 v139, v79, v108
	s_waitcnt vmcnt(2)
	v_mul_f32_e32 v140, v82, v110
	s_waitcnt vmcnt(1) lgkmcnt(0)
	v_mul_f32_e32 v142, v133, v112
	v_mul_f32_e32 v143, v132, v112
	v_fma_f32 v60, v77, v105, -v60
	v_fmac_f32_e32 v61, v78, v105
	v_mul_f32_e32 v141, v81, v110
	v_fma_f32 v77, v79, v107, -v138
	v_fmac_f32_e32 v139, v80, v107
	v_fma_f32 v79, v81, v109, -v140
	v_fma_f32 v81, v132, v111, -v142
	v_fmac_f32_e32 v143, v133, v111
	v_sub_f32_e32 v60, v67, v60
	v_sub_f32_e32 v61, v68, v61
	s_waitcnt vmcnt(0)
	v_mul_f32_e32 v132, v135, v114
	v_mul_f32_e32 v133, v134, v114
	v_fmac_f32_e32 v141, v82, v109
	v_sub_f32_e32 v77, v69, v77
	v_sub_f32_e32 v78, v70, v139
	v_fma_f32 v67, v67, 2.0, -v60
	ds_write_b64 v117, v[60:61] offset:2520
	v_fma_f32 v60, v134, v113, -v132
	v_fmac_f32_e32 v133, v135, v113
	v_sub_f32_e32 v79, v71, v79
	v_sub_f32_e32 v80, v72, v141
	;; [unrolled: 1-line block ×4, first 2 shown]
	v_fma_f32 v68, v68, 2.0, -v61
	v_fma_f32 v69, v69, 2.0, -v77
	;; [unrolled: 1-line block ×3, first 2 shown]
	v_sub_f32_e32 v60, v75, v60
	v_sub_f32_e32 v61, v76, v133
	v_fma_f32 v71, v71, 2.0, -v79
	v_fma_f32 v72, v72, 2.0, -v80
	;; [unrolled: 1-line block ×4, first 2 shown]
	ds_write2_b64 v117, v[67:68], v[69:70] offset1:63
	ds_write2_b64 v66, v[77:78], v[79:80] offset0:122 offset1:185
	ds_write2_b64 v117, v[71:72], v[73:74] offset0:126 offset1:189
	v_fma_f32 v67, v75, 2.0, -v60
	v_fma_f32 v68, v76, 2.0, -v61
	ds_write_b64 v117, v[67:68] offset:2016
	ds_write2_b64 v147, v[81:82], v[60:61] offset0:120 offset1:183
	s_waitcnt lgkmcnt(0)
	; wave barrier
	s_waitcnt lgkmcnt(0)
	global_load_dwordx2 v[71:72], v[136:137], off offset:944
	global_load_dwordx2 v[73:74], v[64:65], off offset:504
	v_add_co_u32_e32 v67, vcc, 0x2000, v84
	v_addc_co_u32_e32 v68, vcc, 0, v83, vcc
	global_load_dwordx2 v[75:76], v[67:68], off offset:1216
	global_load_dwordx2 v[79:80], v[64:65], off offset:1680
                                        ; kill: killed $vgpr67 killed $vgpr68
	global_load_dwordx2 v[81:82], v[64:65], off offset:3360
	global_load_dwordx2 v[132:133], v[64:65], off offset:2184
	;; [unrolled: 1-line block ×5, first 2 shown]
	ds_read2_b64 v[67:70], v117 offset1:63
	ds_read_b64 v[77:78], v117 offset:4368
	s_waitcnt vmcnt(6) lgkmcnt(0)
	v_mul_f32_e32 v145, v77, v76
	v_mul_f32_e32 v83, v68, v72
	;; [unrolled: 1-line block ×3, first 2 shown]
	v_fma_f32 v140, v67, v71, -v83
	v_fmac_f32_e32 v141, v68, v71
	v_mul_f32_e32 v72, v70, v74
	v_mul_f32_e32 v143, v69, v74
	;; [unrolled: 1-line block ×3, first 2 shown]
	ds_write_b64 v117, v[140:141]
	v_fma_f32 v142, v69, v73, -v72
	v_fmac_f32_e32 v143, v70, v73
	ds_read2_b64 v[67:70], v117 offset0:126 offset1:210
	v_fma_f32 v144, v77, v75, -v74
	v_fmac_f32_e32 v145, v78, v75
	ds_read2_b64 v[75:78], v66 offset0:17 offset1:80
	ds_read2_b64 v[71:74], v66 offset0:164 offset1:227
	s_waitcnt vmcnt(5) lgkmcnt(2)
	v_mul_f32_e32 v141, v70, v80
	v_mul_f32_e32 v83, v69, v80
	s_waitcnt vmcnt(1)
	v_mul_f32_e32 v151, v68, v137
	s_waitcnt lgkmcnt(1)
	v_mul_f32_e32 v149, v76, v133
	v_mul_f32_e32 v140, v75, v133
	s_waitcnt lgkmcnt(0)
	v_mul_f32_e32 v148, v72, v82
	v_mul_f32_e32 v80, v71, v82
	;; [unrolled: 1-line block ×5, first 2 shown]
	s_waitcnt vmcnt(0)
	v_mul_f32_e32 v152, v78, v139
	v_mul_f32_e32 v137, v77, v139
	v_fma_f32 v82, v69, v79, -v141
	v_fmac_f32_e32 v83, v70, v79
	v_fma_f32 v139, v75, v132, -v149
	v_fmac_f32_e32 v140, v76, v132
	;; [unrolled: 2-line block ×6, first 2 shown]
	ds_write2_b64 v146, v[82:83], v[139:140] offset0:82 offset1:145
	ds_write2_b64 v117, v[142:143], v[134:135] offset0:63 offset1:126
	ds_write2_b64 v66, v[136:137], v[79:80] offset0:80 offset1:164
	ds_write2_b64 v147, v[132:133], v[144:145] offset0:99 offset1:162
	s_and_saveexec_b64 s[2:3], s[0:1]
	s_cbranch_execz .LBB0_17
; %bb.16:
	global_load_dwordx2 v[71:72], v[64:65], off offset:1512
	global_load_dwordx2 v[73:74], v[64:65], off offset:3192
	v_add_co_u32_e32 v64, vcc, 0x1000, v64
	v_addc_co_u32_e32 v65, vcc, 0, v65, vcc
	global_load_dwordx2 v[64:65], v[64:65], off offset:776
	v_add_u32_e32 v79, 0x500, v117
	ds_read2_b64 v[67:70], v79 offset0:29 offset1:239
	ds_read_b64 v[75:76], v117 offset:4872
	s_waitcnt vmcnt(2) lgkmcnt(1)
	v_mul_f32_e32 v77, v68, v72
	v_mul_f32_e32 v78, v67, v72
	s_waitcnt vmcnt(1)
	v_mul_f32_e32 v80, v70, v74
	v_mul_f32_e32 v72, v69, v74
	v_fma_f32 v77, v67, v71, -v77
	v_fmac_f32_e32 v78, v68, v71
	s_waitcnt vmcnt(0) lgkmcnt(0)
	v_mul_f32_e32 v67, v76, v65
	v_mul_f32_e32 v68, v75, v65
	v_fma_f32 v71, v69, v73, -v80
	v_fmac_f32_e32 v72, v70, v73
	v_fma_f32 v67, v75, v64, -v67
	v_fmac_f32_e32 v68, v76, v64
	ds_write2_b64 v79, v[77:78], v[71:72] offset0:29 offset1:239
	ds_write_b64 v117, v[67:68] offset:4872
.LBB0_17:
	s_or_b64 exec, exec, s[2:3]
	s_waitcnt lgkmcnt(0)
	; wave barrier
	s_waitcnt lgkmcnt(0)
	ds_read2_b64 v[72:75], v117 offset1:63
	ds_read2_b64 v[68:71], v117 offset0:126 offset1:210
	ds_read2_b64 v[76:79], v66 offset0:164 offset1:227
	;; [unrolled: 1-line block ×3, first 2 shown]
	ds_read_b64 v[80:81], v117 offset:4368
	s_and_saveexec_b64 s[2:3], s[0:1]
	s_cbranch_execz .LBB0_19
; %bb.18:
	v_add_u32_e32 v56, 0x500, v117
	ds_read2_b64 v[60:63], v56 offset0:29 offset1:239
	ds_read_b64 v[56:57], v117 offset:4872
.LBB0_19:
	s_or_b64 exec, exec, s[2:3]
	s_waitcnt lgkmcnt(2)
	v_add_f32_e32 v83, v70, v76
	v_add_f32_e32 v82, v72, v70
	v_fma_f32 v72, -0.5, v83, v72
	v_sub_f32_e32 v83, v71, v77
	v_mov_b32_e32 v132, v72
	v_fmac_f32_e32 v132, 0xbf5db3d7, v83
	v_fmac_f32_e32 v72, 0x3f5db3d7, v83
	v_add_f32_e32 v83, v73, v71
	v_add_f32_e32 v71, v71, v77
	v_fma_f32 v73, -0.5, v71, v73
	v_sub_f32_e32 v70, v70, v76
	v_mov_b32_e32 v133, v73
	s_waitcnt lgkmcnt(1)
	v_add_f32_e32 v71, v64, v78
	v_fmac_f32_e32 v133, 0x3f5db3d7, v70
	v_fmac_f32_e32 v73, 0xbf5db3d7, v70
	v_add_f32_e32 v70, v74, v64
	v_fma_f32 v74, -0.5, v71, v74
	v_add_f32_e32 v82, v82, v76
	v_sub_f32_e32 v71, v65, v79
	v_mov_b32_e32 v76, v74
	v_fmac_f32_e32 v76, 0xbf5db3d7, v71
	v_fmac_f32_e32 v74, 0x3f5db3d7, v71
	v_add_f32_e32 v71, v75, v65
	v_add_f32_e32 v65, v65, v79
	v_fmac_f32_e32 v75, -0.5, v65
	v_add_f32_e32 v83, v83, v77
	v_sub_f32_e32 v64, v64, v78
	v_mov_b32_e32 v77, v75
	v_fmac_f32_e32 v77, 0x3f5db3d7, v64
	v_fmac_f32_e32 v75, 0xbf5db3d7, v64
	v_add_f32_e32 v64, v68, v66
	v_add_f32_e32 v70, v70, v78
	s_waitcnt lgkmcnt(0)
	v_add_f32_e32 v78, v64, v80
	v_add_f32_e32 v64, v66, v80
	v_fma_f32 v68, -0.5, v64, v68
	v_sub_f32_e32 v64, v67, v81
	v_mov_b32_e32 v134, v68
	v_fmac_f32_e32 v134, 0xbf5db3d7, v64
	v_fmac_f32_e32 v68, 0x3f5db3d7, v64
	v_add_f32_e32 v64, v69, v67
	v_add_f32_e32 v71, v71, v79
	v_add_f32_e32 v79, v64, v81
	v_add_f32_e32 v64, v67, v81
	v_fmac_f32_e32 v69, -0.5, v64
	v_sub_f32_e32 v64, v66, v80
	v_mov_b32_e32 v135, v69
	v_add_f32_e32 v65, v62, v56
	v_fmac_f32_e32 v135, 0x3f5db3d7, v64
	v_fmac_f32_e32 v69, 0xbf5db3d7, v64
	v_add_f32_e32 v64, v62, v60
	v_fmac_f32_e32 v60, -0.5, v65
	v_sub_f32_e32 v65, v63, v57
	v_mov_b32_e32 v66, v60
	v_fmac_f32_e32 v66, 0xbf5db3d7, v65
	v_fmac_f32_e32 v60, 0x3f5db3d7, v65
	v_add_f32_e32 v65, v63, v61
	v_add_f32_e32 v65, v57, v65
	;; [unrolled: 1-line block ×3, first 2 shown]
	v_fmac_f32_e32 v61, -0.5, v57
	v_add_f32_e32 v64, v56, v64
	v_sub_f32_e32 v56, v62, v56
	v_mov_b32_e32 v67, v61
	v_fmac_f32_e32 v67, 0x3f5db3d7, v56
	v_fmac_f32_e32 v61, 0xbf5db3d7, v56
	s_waitcnt lgkmcnt(0)
	; wave barrier
	ds_write2_b64 v120, v[82:83], v[132:133] offset1:1
	ds_write_b64 v120, v[72:73] offset:16
	ds_write2_b64 v121, v[70:71], v[76:77] offset1:1
	ds_write_b64 v121, v[74:75] offset:16
	;; [unrolled: 2-line block ×3, first 2 shown]
	s_and_saveexec_b64 s[2:3], s[0:1]
	s_cbranch_execz .LBB0_21
; %bb.20:
	v_lshlrev_b32_e32 v56, 3, v123
	ds_write2_b64 v56, v[64:65], v[66:67] offset1:1
	ds_write_b64 v56, v[60:61] offset:16
.LBB0_21:
	s_or_b64 exec, exec, s[2:3]
	v_add_u32_e32 v56, 0x800, v117
	s_waitcnt lgkmcnt(0)
	; wave barrier
	s_waitcnt lgkmcnt(0)
	ds_read2_b64 v[72:75], v117 offset1:63
	ds_read2_b64 v[68:71], v117 offset0:126 offset1:210
	ds_read2_b64 v[80:83], v56 offset0:164 offset1:227
	;; [unrolled: 1-line block ×3, first 2 shown]
	ds_read_b64 v[56:57], v117 offset:4368
	s_and_saveexec_b64 s[2:3], s[0:1]
	s_cbranch_execz .LBB0_23
; %bb.22:
	v_add_u32_e32 v60, 0x500, v117
	ds_read2_b64 v[64:67], v60 offset0:29 offset1:239
	ds_read_b64 v[60:61], v117 offset:4872
.LBB0_23:
	s_or_b64 exec, exec, s[2:3]
	s_waitcnt lgkmcnt(3)
	v_mul_f32_e32 v62, v5, v71
	v_fmac_f32_e32 v62, v4, v70
	v_mul_f32_e32 v5, v5, v70
	s_waitcnt lgkmcnt(2)
	v_mul_f32_e32 v70, v7, v81
	v_fma_f32 v63, v4, v71, -v5
	v_fmac_f32_e32 v70, v6, v80
	v_mul_f32_e32 v4, v7, v80
	s_waitcnt lgkmcnt(1)
	v_mul_f32_e32 v80, v1, v77
	v_mul_f32_e32 v1, v1, v76
	v_fmac_f32_e32 v80, v0, v76
	v_fma_f32 v76, v0, v77, -v1
	v_mul_f32_e32 v77, v3, v83
	v_mul_f32_e32 v0, v3, v82
	v_fmac_f32_e32 v77, v2, v82
	v_fma_f32 v2, v2, v83, -v0
	v_mul_f32_e32 v3, v13, v79
	v_mul_f32_e32 v0, v13, v78
	v_fma_f32 v71, v6, v81, -v4
	v_fmac_f32_e32 v3, v12, v78
	v_fma_f32 v78, v12, v79, -v0
	s_waitcnt lgkmcnt(0)
	v_mul_f32_e32 v79, v15, v57
	v_mul_f32_e32 v0, v15, v56
	v_fmac_f32_e32 v79, v14, v56
	v_fma_f32 v56, v14, v57, -v0
	v_mul_f32_e32 v0, v9, v67
	v_mul_f32_e32 v1, v9, v66
	v_add_f32_e32 v9, v63, v71
	v_fma_f32 v9, -0.5, v9, v73
	v_fma_f32 v4, v8, v67, -v1
	v_mul_f32_e32 v1, v11, v61
	v_mul_f32_e32 v5, v11, v60
	v_sub_f32_e32 v12, v62, v70
	v_mov_b32_e32 v11, v9
	v_add_f32_e32 v13, v80, v77
	v_fmac_f32_e32 v11, 0x3f5db3d7, v12
	v_fmac_f32_e32 v9, 0xbf5db3d7, v12
	v_add_f32_e32 v12, v74, v80
	v_fma_f32 v74, -0.5, v13, v74
	v_sub_f32_e32 v13, v76, v2
	v_mov_b32_e32 v14, v74
	v_fmac_f32_e32 v14, 0xbf5db3d7, v13
	v_fmac_f32_e32 v74, 0x3f5db3d7, v13
	v_add_f32_e32 v13, v75, v76
	v_add_f32_e32 v13, v13, v2
	;; [unrolled: 1-line block ×3, first 2 shown]
	v_fmac_f32_e32 v75, -0.5, v2
	v_sub_f32_e32 v2, v80, v77
	v_mov_b32_e32 v15, v75
	v_fmac_f32_e32 v15, 0x3f5db3d7, v2
	v_fmac_f32_e32 v75, 0xbf5db3d7, v2
	v_add_f32_e32 v2, v68, v3
	v_fmac_f32_e32 v1, v10, v60
	v_add_f32_e32 v60, v2, v79
	v_add_f32_e32 v2, v3, v79
	v_fma_f32 v68, -0.5, v2, v68
	v_add_f32_e32 v6, v72, v62
	v_add_f32_e32 v7, v62, v70
	v_sub_f32_e32 v2, v78, v56
	v_mov_b32_e32 v62, v68
	v_fmac_f32_e32 v62, 0xbf5db3d7, v2
	v_fmac_f32_e32 v68, 0x3f5db3d7, v2
	v_add_f32_e32 v2, v69, v78
	v_fmac_f32_e32 v0, v8, v66
	v_fma_f32 v5, v10, v61, -v5
	v_fma_f32 v8, -0.5, v7, v72
	v_add_f32_e32 v61, v2, v56
	v_add_f32_e32 v2, v78, v56
	v_sub_f32_e32 v7, v63, v71
	v_mov_b32_e32 v10, v8
	v_fmac_f32_e32 v69, -0.5, v2
	v_fmac_f32_e32 v10, 0xbf5db3d7, v7
	v_fmac_f32_e32 v8, 0x3f5db3d7, v7
	v_add_f32_e32 v7, v73, v63
	v_sub_f32_e32 v2, v3, v79
	v_mov_b32_e32 v63, v69
	v_fmac_f32_e32 v63, 0x3f5db3d7, v2
	v_fmac_f32_e32 v69, 0xbf5db3d7, v2
	v_add_f32_e32 v2, v0, v1
	v_fma_f32 v56, -0.5, v2, v64
	v_sub_f32_e32 v3, v4, v5
	v_mov_b32_e32 v2, v56
	v_fmac_f32_e32 v2, 0xbf5db3d7, v3
	v_fmac_f32_e32 v56, 0x3f5db3d7, v3
	v_add_f32_e32 v3, v4, v5
	v_fma_f32 v57, -0.5, v3, v65
	v_sub_f32_e32 v66, v0, v1
	v_mov_b32_e32 v3, v57
	v_add_f32_e32 v6, v6, v70
	v_add_f32_e32 v7, v7, v71
	v_fmac_f32_e32 v3, 0x3f5db3d7, v66
	v_fmac_f32_e32 v57, 0xbf5db3d7, v66
	v_add_f32_e32 v12, v12, v77
	s_waitcnt lgkmcnt(0)
	; wave barrier
	ds_write2_b64 v125, v[6:7], v[10:11] offset1:3
	ds_write_b64 v125, v[8:9] offset:48
	ds_write2_b64 v126, v[12:13], v[14:15] offset1:3
	ds_write_b64 v126, v[74:75] offset:48
	;; [unrolled: 2-line block ×3, first 2 shown]
	s_and_saveexec_b64 s[2:3], s[0:1]
	s_cbranch_execz .LBB0_25
; %bb.24:
	v_add_f32_e32 v4, v4, v65
	v_add_f32_e32 v0, v0, v64
	;; [unrolled: 1-line block ×4, first 2 shown]
	v_add_lshl_u32 v0, v127, v119, 3
	ds_write2_b64 v0, v[4:5], v[2:3] offset1:3
	ds_write_b64 v0, v[56:57] offset:48
.LBB0_25:
	s_or_b64 exec, exec, s[2:3]
	s_waitcnt lgkmcnt(0)
	; wave barrier
	s_waitcnt lgkmcnt(0)
	ds_read2_b64 v[4:7], v117 offset1:63
	ds_read2_b64 v[8:11], v117 offset0:126 offset1:189
	v_add_u32_e32 v60, 0x400, v117
	ds_read2_b64 v[12:15], v60 offset0:124 offset1:187
	v_add_u32_e32 v70, 0x800, v117
	;; [unrolled: 2-line block ×3, first 2 shown]
	ds_read2_b64 v[66:69], v61 offset0:120 offset1:183
	s_waitcnt lgkmcnt(3)
	v_mul_f32_e32 v0, v33, v9
	v_mul_f32_e32 v1, v33, v8
	v_fmac_f32_e32 v0, v32, v8
	v_fma_f32 v1, v32, v9, -v1
	s_waitcnt lgkmcnt(2)
	v_mul_f32_e32 v32, v35, v13
	v_mul_f32_e32 v8, v35, v12
	v_fmac_f32_e32 v32, v34, v12
	v_fma_f32 v33, v34, v13, -v8
	s_waitcnt lgkmcnt(1)
	v_mul_f32_e32 v34, v29, v63
	v_fmac_f32_e32 v34, v28, v62
	v_mul_f32_e32 v8, v29, v62
	v_fma_f32 v35, v28, v63, -v8
	s_waitcnt lgkmcnt(0)
	v_mul_f32_e32 v13, v31, v67
	v_mul_f32_e32 v8, v31, v66
	;; [unrolled: 1-line block ×3, first 2 shown]
	v_add_f32_e32 v9, v32, v34
	v_fmac_f32_e32 v13, v30, v66
	v_fma_f32 v30, v30, v67, -v8
	v_fmac_f32_e32 v62, v40, v10
	v_mul_f32_e32 v8, v41, v10
	v_fma_f32 v10, -0.5, v9, v4
	v_fma_f32 v40, v40, v11, -v8
	v_mul_f32_e32 v41, v43, v15
	v_mul_f32_e32 v8, v43, v14
	v_sub_f32_e32 v9, v1, v30
	v_mov_b32_e32 v12, v10
	v_fmac_f32_e32 v41, v42, v14
	v_fma_f32 v42, v42, v15, -v8
	v_fmac_f32_e32 v12, 0xbf737871, v9
	v_sub_f32_e32 v11, v33, v35
	v_sub_f32_e32 v14, v0, v32
	;; [unrolled: 1-line block ×3, first 2 shown]
	v_fmac_f32_e32 v10, 0x3f737871, v9
	v_fmac_f32_e32 v12, 0xbf167918, v11
	v_add_f32_e32 v14, v14, v15
	v_fmac_f32_e32 v10, 0x3f167918, v11
	v_fmac_f32_e32 v12, 0x3e9e377a, v14
	;; [unrolled: 1-line block ×3, first 2 shown]
	v_add_f32_e32 v14, v0, v13
	v_mul_f32_e32 v43, v37, v65
	v_mul_f32_e32 v8, v37, v64
	v_fma_f32 v14, -0.5, v14, v4
	v_fmac_f32_e32 v43, v36, v64
	v_fma_f32 v36, v36, v65, -v8
	v_mul_f32_e32 v37, v39, v69
	v_mul_f32_e32 v8, v39, v68
	v_mov_b32_e32 v28, v14
	v_fmac_f32_e32 v37, v38, v68
	v_fma_f32 v38, v38, v69, -v8
	v_add_f32_e32 v8, v4, v0
	v_fmac_f32_e32 v28, 0x3f737871, v11
	v_sub_f32_e32 v4, v32, v0
	v_sub_f32_e32 v15, v34, v13
	v_fmac_f32_e32 v14, 0xbf737871, v11
	v_fmac_f32_e32 v28, 0xbf167918, v9
	v_add_f32_e32 v4, v4, v15
	v_fmac_f32_e32 v14, 0x3f167918, v9
	v_fmac_f32_e32 v28, 0x3e9e377a, v4
	;; [unrolled: 1-line block ×3, first 2 shown]
	v_add_f32_e32 v4, v5, v1
	v_add_f32_e32 v4, v4, v33
	;; [unrolled: 1-line block ×7, first 2 shown]
	v_fma_f32 v11, -0.5, v4, v5
	v_add_f32_e32 v8, v8, v13
	v_sub_f32_e32 v0, v0, v13
	v_mov_b32_e32 v13, v11
	v_fmac_f32_e32 v13, 0x3f737871, v0
	v_sub_f32_e32 v4, v32, v34
	v_sub_f32_e32 v15, v1, v33
	;; [unrolled: 1-line block ×3, first 2 shown]
	v_fmac_f32_e32 v11, 0xbf737871, v0
	v_fmac_f32_e32 v13, 0x3f167918, v4
	v_add_f32_e32 v15, v15, v29
	v_fmac_f32_e32 v11, 0xbf167918, v4
	v_fmac_f32_e32 v13, 0x3e9e377a, v15
	;; [unrolled: 1-line block ×3, first 2 shown]
	v_add_f32_e32 v15, v1, v30
	v_fma_f32 v15, -0.5, v15, v5
	v_mov_b32_e32 v29, v15
	v_fmac_f32_e32 v29, 0xbf737871, v4
	v_fmac_f32_e32 v15, 0x3f737871, v4
	;; [unrolled: 1-line block ×4, first 2 shown]
	v_add_f32_e32 v0, v6, v62
	v_add_f32_e32 v0, v0, v41
	;; [unrolled: 1-line block ×3, first 2 shown]
	v_sub_f32_e32 v1, v33, v1
	v_sub_f32_e32 v5, v35, v30
	v_add_f32_e32 v30, v0, v37
	v_add_f32_e32 v0, v41, v43
	;; [unrolled: 1-line block ×3, first 2 shown]
	v_fma_f32 v0, -0.5, v0, v6
	v_fmac_f32_e32 v29, 0x3e9e377a, v1
	v_fmac_f32_e32 v15, 0x3e9e377a, v1
	v_sub_f32_e32 v1, v40, v38
	v_mov_b32_e32 v32, v0
	v_fmac_f32_e32 v32, 0xbf737871, v1
	v_sub_f32_e32 v5, v42, v36
	v_sub_f32_e32 v4, v62, v41
	;; [unrolled: 1-line block ×3, first 2 shown]
	v_fmac_f32_e32 v0, 0x3f737871, v1
	v_fmac_f32_e32 v32, 0xbf167918, v5
	v_add_f32_e32 v4, v4, v31
	v_fmac_f32_e32 v0, 0x3f167918, v5
	v_fmac_f32_e32 v32, 0x3e9e377a, v4
	;; [unrolled: 1-line block ×3, first 2 shown]
	v_add_f32_e32 v4, v62, v37
	v_fma_f32 v6, -0.5, v4, v6
	v_mov_b32_e32 v4, v6
	v_fmac_f32_e32 v4, 0x3f737871, v5
	v_fmac_f32_e32 v6, 0xbf737871, v5
	;; [unrolled: 1-line block ×4, first 2 shown]
	v_add_f32_e32 v1, v7, v40
	v_sub_f32_e32 v31, v41, v62
	v_sub_f32_e32 v33, v43, v37
	v_add_f32_e32 v1, v1, v42
	v_add_f32_e32 v31, v31, v33
	;; [unrolled: 1-line block ×3, first 2 shown]
	v_fmac_f32_e32 v4, 0x3e9e377a, v31
	v_fmac_f32_e32 v6, 0x3e9e377a, v31
	v_add_f32_e32 v31, v1, v38
	v_add_f32_e32 v1, v42, v36
	v_fma_f32 v1, -0.5, v1, v7
	v_sub_f32_e32 v34, v62, v37
	v_mov_b32_e32 v33, v1
	v_fmac_f32_e32 v33, 0x3f737871, v34
	v_sub_f32_e32 v35, v41, v43
	v_sub_f32_e32 v5, v40, v42
	v_sub_f32_e32 v37, v38, v36
	v_fmac_f32_e32 v1, 0xbf737871, v34
	v_fmac_f32_e32 v33, 0x3f167918, v35
	v_add_f32_e32 v5, v5, v37
	v_fmac_f32_e32 v1, 0xbf167918, v35
	v_fmac_f32_e32 v33, 0x3e9e377a, v5
	;; [unrolled: 1-line block ×3, first 2 shown]
	v_add_f32_e32 v5, v40, v38
	v_fmac_f32_e32 v7, -0.5, v5
	v_mov_b32_e32 v5, v7
	v_fmac_f32_e32 v5, 0xbf737871, v35
	v_sub_f32_e32 v37, v42, v40
	v_sub_f32_e32 v36, v36, v38
	v_fmac_f32_e32 v7, 0x3f737871, v35
	v_fmac_f32_e32 v5, 0x3f167918, v34
	v_add_f32_e32 v36, v37, v36
	v_fmac_f32_e32 v7, 0xbf167918, v34
	v_fmac_f32_e32 v5, 0x3e9e377a, v36
	;; [unrolled: 1-line block ×3, first 2 shown]
	s_waitcnt lgkmcnt(0)
	; wave barrier
	ds_write2_b64 v129, v[8:9], v[12:13] offset1:9
	ds_write2_b64 v129, v[28:29], v[14:15] offset0:18 offset1:27
	ds_write_b64 v129, v[10:11] offset:288
	ds_write2_b64 v130, v[30:31], v[32:33] offset1:9
	ds_write2_b64 v130, v[4:5], v[6:7] offset0:18 offset1:27
	ds_write_b64 v130, v[0:1] offset:288
	s_waitcnt lgkmcnt(0)
	; wave barrier
	s_waitcnt lgkmcnt(0)
	ds_read2_b64 v[8:11], v117 offset1:90
	ds_read2_b64 v[28:31], v60 offset0:52 offset1:142
	ds_read2_b64 v[12:15], v70 offset0:104 offset1:194
	ds_read_b64 v[32:33], v117 offset:4320
	s_and_saveexec_b64 s[2:3], s[4:5]
	s_cbranch_execz .LBB0_27
; %bb.26:
	ds_read2_b64 v[4:7], v117 offset0:63 offset1:153
	ds_read2_b64 v[0:3], v60 offset0:115 offset1:205
	;; [unrolled: 1-line block ×3, first 2 shown]
	ds_read_b64 v[115:116], v117 offset:4824
.LBB0_27:
	s_or_b64 exec, exec, s[2:3]
	s_waitcnt lgkmcnt(3)
	v_mul_f32_e32 v34, v53, v11
	v_fmac_f32_e32 v34, v52, v10
	v_mul_f32_e32 v10, v53, v10
	v_fma_f32 v10, v52, v11, -v10
	s_waitcnt lgkmcnt(2)
	v_mul_f32_e32 v11, v55, v29
	v_fmac_f32_e32 v11, v54, v28
	v_mul_f32_e32 v28, v55, v28
	v_fma_f32 v28, v54, v29, -v28
	v_mul_f32_e32 v29, v49, v31
	v_fmac_f32_e32 v29, v48, v30
	v_mul_f32_e32 v30, v49, v30
	v_fma_f32 v30, v48, v31, -v30
	s_waitcnt lgkmcnt(1)
	v_mul_f32_e32 v31, v51, v13
	v_fmac_f32_e32 v31, v50, v12
	v_mul_f32_e32 v12, v51, v12
	v_fma_f32 v12, v50, v13, -v12
	;; [unrolled: 9-line block ×3, first 2 shown]
	v_add_f32_e32 v33, v34, v15
	v_add_f32_e32 v35, v10, v32
	v_sub_f32_e32 v10, v10, v32
	v_add_f32_e32 v32, v11, v13
	v_sub_f32_e32 v15, v34, v15
	;; [unrolled: 2-line block ×3, first 2 shown]
	v_sub_f32_e32 v13, v28, v14
	v_add_f32_e32 v14, v29, v31
	v_add_f32_e32 v28, v30, v12
	v_sub_f32_e32 v12, v12, v30
	v_add_f32_e32 v30, v32, v33
	v_sub_f32_e32 v29, v31, v29
	;; [unrolled: 2-line block ×3, first 2 shown]
	v_sub_f32_e32 v33, v33, v14
	v_sub_f32_e32 v32, v14, v32
	v_add_f32_e32 v14, v14, v30
	v_sub_f32_e32 v37, v34, v35
	v_sub_f32_e32 v35, v35, v28
	;; [unrolled: 1-line block ×3, first 2 shown]
	v_add_f32_e32 v28, v28, v31
	v_add_f32_e32 v8, v8, v14
	;; [unrolled: 1-line block ×4, first 2 shown]
	v_sub_f32_e32 v40, v29, v11
	v_sub_f32_e32 v41, v12, v13
	v_add_f32_e32 v9, v9, v28
	v_mov_b32_e32 v42, v8
	v_sub_f32_e32 v29, v15, v29
	v_sub_f32_e32 v12, v10, v12
	v_sub_f32_e32 v11, v11, v15
	v_sub_f32_e32 v13, v13, v10
	v_add_f32_e32 v15, v38, v15
	v_add_f32_e32 v10, v39, v10
	v_mul_f32_e32 v30, 0x3f4a47b2, v33
	v_mul_f32_e32 v31, 0x3f4a47b2, v35
	;; [unrolled: 1-line block ×6, first 2 shown]
	s_mov_b32 s12, 0xbf5ff5aa
	v_fmac_f32_e32 v42, 0xbf955555, v14
	v_mov_b32_e32 v14, v9
	s_mov_b32 s13, 0x3f3bfb3b
	s_mov_b32 s14, 0xbf3bfb3b
	v_mul_f32_e32 v40, 0xbf5ff5aa, v11
	v_mul_f32_e32 v41, 0xbf5ff5aa, v13
	v_fmac_f32_e32 v14, 0xbf955555, v28
	v_fma_f32 v28, v36, s13, -v33
	v_fma_f32 v33, v37, s13, -v35
	;; [unrolled: 1-line block ×3, first 2 shown]
	v_fmac_f32_e32 v30, 0x3d64c772, v32
	v_fma_f32 v32, v37, s14, -v31
	v_fmac_f32_e32 v31, 0x3d64c772, v34
	v_fma_f32 v34, v11, s12, -v38
	;; [unrolled: 2-line block ×3, first 2 shown]
	v_fmac_f32_e32 v39, 0xbeae86e6, v12
	s_mov_b32 s15, 0x3eae86e6
	v_fma_f32 v37, v29, s15, -v40
	v_fma_f32 v40, v12, s15, -v41
	v_add_f32_e32 v41, v30, v42
	v_add_f32_e32 v43, v31, v14
	v_fmac_f32_e32 v38, 0xbee1c552, v15
	v_fmac_f32_e32 v39, 0xbee1c552, v10
	v_add_f32_e32 v28, v28, v42
	v_add_f32_e32 v29, v33, v14
	;; [unrolled: 1-line block ×4, first 2 shown]
	v_fmac_f32_e32 v34, 0xbee1c552, v15
	v_fmac_f32_e32 v36, 0xbee1c552, v10
	;; [unrolled: 1-line block ×4, first 2 shown]
	v_add_f32_e32 v10, v39, v41
	v_sub_f32_e32 v11, v43, v38
	v_add_f32_e32 v12, v40, v30
	v_sub_f32_e32 v13, v31, v37
	v_sub_f32_e32 v14, v28, v36
	v_add_f32_e32 v15, v34, v29
	v_add_f32_e32 v28, v36, v28
	v_sub_f32_e32 v29, v29, v34
	v_sub_f32_e32 v30, v30, v40
	v_add_f32_e32 v31, v37, v31
	v_sub_f32_e32 v32, v41, v39
	v_add_f32_e32 v33, v38, v43
	s_waitcnt lgkmcnt(0)
	; wave barrier
	ds_write2_b64 v131, v[8:9], v[10:11] offset1:45
	ds_write2_b64 v131, v[12:13], v[14:15] offset0:90 offset1:135
	ds_write2_b64 v131, v[28:29], v[30:31] offset0:180 offset1:225
	ds_write_b64 v131, v[32:33] offset:2160
	s_and_saveexec_b64 s[2:3], s[4:5]
	s_cbranch_execz .LBB0_29
; %bb.28:
	v_mul_f32_e32 v12, v25, v3
	v_mul_f32_e32 v8, v17, v7
	v_fmac_f32_e32 v12, v24, v2
	v_mul_f32_e32 v2, v25, v2
	v_fmac_f32_e32 v8, v16, v6
	v_mul_f32_e32 v9, v23, v116
	v_mul_f32_e32 v23, v23, v115
	;; [unrolled: 1-line block ×3, first 2 shown]
	v_fma_f32 v2, v24, v3, -v2
	v_mul_f32_e32 v3, v27, v56
	v_fmac_f32_e32 v9, v22, v115
	v_mul_f32_e32 v15, v19, v1
	v_fma_f32 v22, v22, v116, -v23
	v_fma_f32 v6, v16, v7, -v6
	;; [unrolled: 1-line block ×3, first 2 shown]
	v_fmac_f32_e32 v15, v18, v0
	v_mul_f32_e32 v28, v21, v59
	v_add_f32_e32 v7, v22, v6
	v_add_f32_e32 v3, v2, v16
	v_mul_f32_e32 v21, v21, v58
	v_mul_f32_e32 v0, v19, v0
	v_fmac_f32_e32 v28, v20, v58
	v_sub_f32_e32 v17, v7, v3
	v_fma_f32 v20, v20, v59, -v21
	v_fma_f32 v18, v18, v1, -v0
	v_mul_f32_e32 v17, 0x3f4a47b2, v17
	v_add_f32_e32 v19, v20, v18
	v_sub_f32_e32 v0, v3, v19
	v_mov_b32_e32 v23, v17
	v_mul_f32_e32 v21, 0x3d64c772, v0
	v_fmac_f32_e32 v23, 0x3d64c772, v0
	v_add_f32_e32 v0, v19, v7
	v_add_f32_e32 v0, v3, v0
	v_mul_f32_e32 v11, v27, v57
	v_add_f32_e32 v1, v5, v0
	v_fmac_f32_e32 v11, v26, v56
	v_mov_b32_e32 v24, v1
	v_sub_f32_e32 v10, v8, v9
	v_fmac_f32_e32 v24, 0xbf955555, v0
	v_add_f32_e32 v8, v9, v8
	v_add_f32_e32 v0, v12, v11
	v_sub_f32_e32 v5, v8, v0
	v_sub_f32_e32 v13, v11, v12
	v_mul_f32_e32 v9, 0x3f4a47b2, v5
	v_add_f32_e32 v11, v28, v15
	v_sub_f32_e32 v29, v15, v28
	v_sub_f32_e32 v5, v0, v11
	v_mov_b32_e32 v15, v9
	v_mul_f32_e32 v12, 0x3d64c772, v5
	v_fmac_f32_e32 v15, 0x3d64c772, v5
	v_add_f32_e32 v5, v11, v8
	v_add_f32_e32 v5, v0, v5
	;; [unrolled: 1-line block ×3, first 2 shown]
	v_mov_b32_e32 v25, v0
	v_sub_f32_e32 v2, v16, v2
	v_sub_f32_e32 v16, v18, v20
	;; [unrolled: 1-line block ×5, first 2 shown]
	v_add_f32_e32 v13, v13, v29
	v_fmac_f32_e32 v25, 0xbf955555, v5
	v_sub_f32_e32 v4, v6, v22
	v_sub_f32_e32 v5, v2, v16
	v_fma_f32 v9, v8, s14, -v9
	v_mul_f32_e32 v30, 0x3f08b237, v30
	v_add_f32_e32 v13, v13, v10
	v_sub_f32_e32 v6, v4, v2
	v_mul_f32_e32 v18, 0x3f08b237, v5
	v_add_f32_e32 v2, v2, v16
	v_sub_f32_e32 v10, v29, v10
	v_sub_f32_e32 v7, v19, v7
	v_add_f32_e32 v19, v9, v25
	v_sub_f32_e32 v9, v16, v4
	v_mov_b32_e32 v31, v30
	v_mov_b32_e32 v20, v18
	v_add_f32_e32 v22, v2, v4
	v_mul_f32_e32 v5, 0xbf5ff5aa, v10
	v_mul_f32_e32 v4, 0xbf5ff5aa, v9
	v_fmac_f32_e32 v31, 0xbeae86e6, v14
	v_fmac_f32_e32 v20, 0xbeae86e6, v6
	v_fma_f32 v14, v14, s15, -v5
	v_fma_f32 v5, v7, s14, -v17
	;; [unrolled: 1-line block ×5, first 2 shown]
	v_fmac_f32_e32 v14, 0xbee1c552, v13
	v_add_f32_e32 v17, v5, v24
	v_add_f32_e32 v11, v6, v24
	v_fmac_f32_e32 v10, 0xbee1c552, v13
	v_fmac_f32_e32 v31, 0xbee1c552, v13
	v_add_f32_e32 v5, v14, v17
	v_sub_f32_e32 v7, v11, v10
	v_fma_f32 v13, v9, s12, -v18
	v_fma_f32 v6, v8, s13, -v12
	v_add_f32_e32 v9, v10, v11
	v_sub_f32_e32 v11, v17, v14
	v_mov_b32_e32 v14, 3
	v_add_f32_e32 v23, v23, v24
	v_add_f32_e32 v15, v15, v25
	v_fmac_f32_e32 v20, 0xbee1c552, v22
	v_fmac_f32_e32 v13, 0xbee1c552, v22
	v_add_f32_e32 v8, v6, v25
	v_lshlrev_b32_sdwa v14, v14, v124 dst_sel:DWORD dst_unused:UNUSED_PAD src0_sel:DWORD src1_sel:BYTE_0
	v_sub_f32_e32 v2, v15, v20
	v_fmac_f32_e32 v16, 0xbee1c552, v22
	v_add_f32_e32 v6, v13, v8
	v_sub_f32_e32 v8, v8, v13
	v_sub_f32_e32 v13, v23, v31
	v_add_f32_e32 v12, v20, v15
	v_add_u32_e32 v15, 0x800, v14
	v_sub_f32_e32 v4, v19, v16
	v_add_f32_e32 v10, v16, v19
	ds_write2_b64 v15, v[0:1], v[12:13] offset0:59 offset1:104
	ds_write2_b64 v15, v[10:11], v[8:9] offset0:149 offset1:194
	v_add_u32_e32 v0, 0xc00, v14
	v_add_f32_e32 v3, v31, v23
	ds_write2_b64 v0, v[6:7], v[4:5] offset0:111 offset1:156
	ds_write_b64 v14, v[2:3] offset:4680
.LBB0_29:
	s_or_b64 exec, exec, s[2:3]
	v_add_u32_e32 v4, 0x400, v117
	s_waitcnt lgkmcnt(0)
	; wave barrier
	s_waitcnt lgkmcnt(0)
	ds_read2_b64 v[4:7], v4 offset0:124 offset1:187
	v_add_u32_e32 v22, 0x800, v117
	ds_read2_b64 v[0:3], v117 offset1:63
	ds_read2_b64 v[8:11], v22 offset0:122 offset1:185
	ds_read2_b64 v[12:15], v117 offset0:126 offset1:189
	v_add_u32_e32 v23, 0xc00, v117
	ds_read2_b64 v[16:19], v23 offset0:120 offset1:183
	s_waitcnt lgkmcnt(4)
	v_mul_f32_e32 v24, v106, v7
	v_fmac_f32_e32 v24, v105, v6
	v_mul_f32_e32 v6, v106, v6
	v_fma_f32 v7, v105, v7, -v6
	s_waitcnt lgkmcnt(2)
	v_mul_f32_e32 v6, v108, v8
	v_mul_f32_e32 v25, v108, v9
	v_fma_f32 v9, v107, v9, -v6
	v_mul_f32_e32 v6, v110, v10
	v_mul_f32_e32 v26, v110, v11
	v_fma_f32 v11, v109, v11, -v6
	s_waitcnt lgkmcnt(0)
	v_mul_f32_e32 v6, v112, v16
	v_fmac_f32_e32 v25, v107, v8
	v_mul_f32_e32 v27, v112, v17
	v_fma_f32 v17, v111, v17, -v6
	v_mul_f32_e32 v28, v114, v19
	v_mul_f32_e32 v6, v114, v18
	v_fmac_f32_e32 v26, v109, v10
	v_fmac_f32_e32 v27, v111, v16
	v_fmac_f32_e32 v28, v113, v18
	v_fma_f32 v19, v113, v19, -v6
	v_sub_f32_e32 v6, v0, v24
	v_sub_f32_e32 v7, v1, v7
	;; [unrolled: 1-line block ×4, first 2 shown]
	v_mad_u64_u32 v[20:21], s[2:3], s10, v98, 0
	v_fma_f32 v0, v0, 2.0, -v6
	v_fma_f32 v1, v1, 2.0, -v7
	v_fma_f32 v2, v2, 2.0, -v8
	v_fma_f32 v3, v3, 2.0, -v9
	v_sub_f32_e32 v10, v12, v26
	v_sub_f32_e32 v11, v13, v11
	;; [unrolled: 1-line block ×6, first 2 shown]
	v_fma_f32 v12, v12, 2.0, -v10
	v_fma_f32 v13, v13, 2.0, -v11
	v_fma_f32 v14, v14, 2.0, -v16
	v_fma_f32 v15, v15, 2.0, -v17
	v_fma_f32 v4, v4, 2.0, -v18
	v_fma_f32 v5, v5, 2.0, -v19
	ds_write_b64 v117, v[6:7] offset:2520
	ds_write2_b64 v117, v[0:1], v[2:3] offset1:63
	ds_write2_b64 v22, v[8:9], v[10:11] offset0:122 offset1:185
	ds_write2_b64 v117, v[12:13], v[14:15] offset0:126 offset1:189
	ds_write_b64 v117, v[4:5] offset:2016
	ds_write2_b64 v23, v[16:17], v[18:19] offset0:120 offset1:183
	s_waitcnt lgkmcnt(0)
	; wave barrier
	s_waitcnt lgkmcnt(0)
	ds_read2_b64 v[0:3], v117 offset1:63
	v_mov_b32_e32 v4, v21
	v_mad_u64_u32 v[4:5], s[2:3], s11, v98, v[4:5]
	s_mov_b32 s2, 0x1a01a01a
	s_waitcnt lgkmcnt(0)
	v_mul_f32_e32 v5, v104, v1
	v_fmac_f32_e32 v5, v103, v0
	v_cvt_f64_f32_e32 v[5:6], v5
	s_mov_b32 s3, 0x3f5a01a0
	v_mad_u64_u32 v[8:9], s[4:5], s8, v118, 0
	v_mul_f64 v[5:6], v[5:6], s[2:3]
	v_mul_f32_e32 v0, v104, v0
	v_fma_f32 v0, v103, v1, -v0
	v_cvt_f64_f32_e32 v[0:1], v0
	v_mov_b32_e32 v21, v4
	v_mov_b32_e32 v4, v9
	;; [unrolled: 1-line block ×3, first 2 shown]
	v_mul_f64 v[0:1], v[0:1], s[2:3]
	v_mad_u64_u32 v[9:10], s[4:5], s9, v118, v[4:5]
	v_cvt_f32_f64_e32 v10, v[5:6]
	ds_read2_b64 v[4:7], v117 offset0:126 offset1:210
	v_lshlrev_b64 v[8:9], 3, v[8:9]
	s_mul_i32 s4, s9, 0xd2
	s_mul_hi_u32 s5, s8, 0xd2
	v_cvt_f32_f64_e32 v11, v[0:1]
	s_waitcnt lgkmcnt(0)
	v_mul_f32_e32 v12, v102, v7
	v_fmac_f32_e32 v12, v101, v6
	v_mul_f32_e32 v6, v102, v6
	v_fma_f32 v6, v101, v7, -v6
	v_cvt_f64_f32_e32 v[12:13], v12
	v_cvt_f64_f32_e32 v[6:7], v6
	v_lshlrev_b64 v[0:1], 3, v[20:21]
	s_add_i32 s5, s5, s4
	v_add_co_u32_e32 v15, vcc, s6, v0
	v_addc_co_u32_e32 v14, vcc, v14, v1, vcc
	v_mul_f64 v[0:1], v[12:13], s[2:3]
	v_mul_f64 v[6:7], v[6:7], s[2:3]
	v_add_co_u32_e32 v12, vcc, v15, v8
	v_addc_co_u32_e32 v13, vcc, v14, v9, vcc
	global_store_dwordx2 v[12:13], v[10:11], off
	v_mul_f32_e32 v14, v100, v3
	v_cvt_f32_f64_e32 v0, v[0:1]
	v_cvt_f32_f64_e32 v1, v[6:7]
	ds_read2_b64 v[6:9], v22 offset0:164 offset1:227
	v_fmac_f32_e32 v14, v99, v2
	v_mul_f32_e32 v2, v100, v2
	v_fma_f32 v2, v99, v3, -v2
	s_mul_i32 s4, s8, 0xd2
	s_waitcnt lgkmcnt(0)
	v_mul_f32_e32 v10, v97, v7
	v_fmac_f32_e32 v10, v96, v6
	v_cvt_f64_f32_e32 v[10:11], v10
	v_mul_f32_e32 v6, v97, v6
	v_fma_f32 v6, v96, v7, -v6
	v_cvt_f64_f32_e32 v[6:7], v6
	v_mul_f64 v[10:11], v[10:11], s[2:3]
	v_cvt_f64_f32_e32 v[14:15], v14
	v_cvt_f64_f32_e32 v[2:3], v2
	v_mul_f64 v[6:7], v[6:7], s[2:3]
	s_lshl_b64 s[4:5], s[4:5], 3
	v_mov_b32_e32 v16, s5
	v_add_co_u32_e32 v12, vcc, s4, v12
	v_addc_co_u32_e32 v13, vcc, v13, v16, vcc
	global_store_dwordx2 v[12:13], v[0:1], off
	v_cvt_f32_f64_e32 v0, v[10:11]
	v_mul_f64 v[10:11], v[14:15], s[2:3]
	v_mul_f64 v[2:3], v[2:3], s[2:3]
	v_cvt_f32_f64_e32 v1, v[6:7]
	v_add_co_u32_e32 v6, vcc, s4, v12
	v_addc_co_u32_e32 v7, vcc, v13, v16, vcc
	global_store_dwordx2 v[6:7], v[0:1], off
	v_cvt_f32_f64_e32 v10, v[10:11]
	v_cvt_f32_f64_e32 v11, v[2:3]
	ds_read2_b64 v[0:3], v22 offset0:17 offset1:80
	s_mul_hi_u32 s7, s8, 0xfffffe9b
	s_mul_i32 s6, s9, 0xfffffe9b
	s_sub_i32 s7, s7, s8
	s_add_i32 s7, s7, s6
	s_waitcnt lgkmcnt(0)
	v_mul_f32_e32 v12, v95, v1
	v_fmac_f32_e32 v12, v94, v0
	v_mul_f32_e32 v0, v95, v0
	v_fma_f32 v0, v94, v1, -v0
	v_cvt_f64_f32_e32 v[0:1], v0
	v_cvt_f64_f32_e32 v[12:13], v12
	s_mul_i32 s6, s8, 0xfffffe9b
	s_lshl_b64 s[6:7], s[6:7], 3
	v_mul_f64 v[0:1], v[0:1], s[2:3]
	v_mul_f64 v[12:13], v[12:13], s[2:3]
	v_mov_b32_e32 v14, s7
	v_add_co_u32_e32 v6, vcc, s6, v6
	v_addc_co_u32_e32 v7, vcc, v7, v14, vcc
	global_store_dwordx2 v[6:7], v[10:11], off
	v_cvt_f32_f64_e32 v11, v[0:1]
	v_mul_f32_e32 v0, v93, v9
	v_fmac_f32_e32 v0, v92, v8
	v_mul_f32_e32 v8, v93, v8
	v_fma_f32 v8, v92, v9, -v8
	v_cvt_f64_f32_e32 v[0:1], v0
	v_cvt_f64_f32_e32 v[8:9], v8
	v_cvt_f32_f64_e32 v10, v[12:13]
	v_mul_f32_e32 v12, v91, v5
	v_fmac_f32_e32 v12, v90, v4
	v_mul_f32_e32 v4, v91, v4
	v_fma_f32 v4, v90, v5, -v4
	v_mul_f64 v[0:1], v[0:1], s[2:3]
	v_mul_f64 v[8:9], v[8:9], s[2:3]
	v_cvt_f64_f32_e32 v[4:5], v4
	v_cvt_f64_f32_e32 v[12:13], v12
	v_add_co_u32_e32 v6, vcc, s4, v6
	v_mul_f64 v[4:5], v[4:5], s[2:3]
	v_addc_co_u32_e32 v7, vcc, v7, v16, vcc
	v_cvt_f32_f64_e32 v0, v[0:1]
	v_cvt_f32_f64_e32 v1, v[8:9]
	global_store_dwordx2 v[6:7], v[10:11], off
	v_add_co_u32_e32 v6, vcc, s4, v6
	v_mul_f64 v[10:11], v[12:13], s[2:3]
	v_addc_co_u32_e32 v7, vcc, v7, v16, vcc
	global_store_dwordx2 v[6:7], v[0:1], off
	v_cvt_f32_f64_e32 v1, v[4:5]
	v_mul_f32_e32 v4, v89, v3
	v_fmac_f32_e32 v4, v88, v2
	v_cvt_f64_f32_e32 v[4:5], v4
	ds_read_b64 v[8:9], v117 offset:4368
	v_mul_f32_e32 v2, v89, v2
	v_cvt_f32_f64_e32 v0, v[10:11]
	v_mul_f64 v[4:5], v[4:5], s[2:3]
	v_fma_f32 v2, v88, v3, -v2
	s_waitcnt lgkmcnt(0)
	v_mul_f32_e32 v10, v87, v9
	v_cvt_f64_f32_e32 v[2:3], v2
	v_fmac_f32_e32 v10, v86, v8
	v_mul_f32_e32 v8, v87, v8
	v_fma_f32 v8, v86, v9, -v8
	v_cvt_f64_f32_e32 v[10:11], v10
	v_cvt_f64_f32_e32 v[8:9], v8
	v_add_co_u32_e32 v6, vcc, s6, v6
	v_mul_f64 v[2:3], v[2:3], s[2:3]
	v_addc_co_u32_e32 v7, vcc, v7, v14, vcc
	global_store_dwordx2 v[6:7], v[0:1], off
	v_cvt_f32_f64_e32 v0, v[4:5]
	v_mul_f64 v[4:5], v[10:11], s[2:3]
	v_mul_f64 v[8:9], v[8:9], s[2:3]
	v_cvt_f32_f64_e32 v1, v[2:3]
	v_add_co_u32_e32 v2, vcc, s4, v6
	v_addc_co_u32_e32 v3, vcc, v7, v16, vcc
	v_cvt_f32_f64_e32 v4, v[4:5]
	v_cvt_f32_f64_e32 v5, v[8:9]
	global_store_dwordx2 v[2:3], v[0:1], off
	v_add_co_u32_e32 v0, vcc, s4, v2
	v_addc_co_u32_e32 v1, vcc, v3, v16, vcc
	global_store_dwordx2 v[0:1], v[4:5], off
	s_and_b64 exec, exec, s[0:1]
	s_cbranch_execz .LBB0_31
; %bb.30:
	s_movk_i32 s0, 0x1000
	v_add_co_u32_e32 v2, vcc, s0, v84
	global_load_dwordx2 v[6:7], v[84:85], off offset:1512
	global_load_dwordx2 v[8:9], v[84:85], off offset:3192
	v_addc_co_u32_e32 v3, vcc, 0, v85, vcc
	global_load_dwordx2 v[10:11], v[2:3], off offset:776
	v_add_u32_e32 v2, 0x500, v117
	ds_read_b64 v[12:13], v117 offset:4872
	ds_read2_b64 v[2:5], v2 offset0:29 offset1:239
	v_mov_b32_e32 v14, s7
	v_add_co_u32_e32 v0, vcc, s6, v0
	v_addc_co_u32_e32 v1, vcc, v1, v14, vcc
	v_mov_b32_e32 v16, s5
	s_waitcnt vmcnt(2) lgkmcnt(0)
	v_mul_f32_e32 v14, v3, v7
	v_mul_f32_e32 v7, v2, v7
	s_waitcnt vmcnt(1)
	v_mul_f32_e32 v15, v5, v9
	v_mul_f32_e32 v9, v4, v9
	v_fmac_f32_e32 v14, v2, v6
	v_fma_f32 v6, v6, v3, -v7
	v_fmac_f32_e32 v15, v4, v8
	v_fma_f32 v8, v8, v5, -v9
	v_cvt_f64_f32_e32 v[2:3], v14
	v_cvt_f64_f32_e32 v[4:5], v6
	s_waitcnt vmcnt(0)
	v_mul_f32_e32 v14, v13, v11
	v_mul_f32_e32 v11, v12, v11
	v_cvt_f64_f32_e32 v[6:7], v15
	v_cvt_f64_f32_e32 v[8:9], v8
	v_fmac_f32_e32 v14, v12, v10
	v_fma_f32 v12, v10, v13, -v11
	v_cvt_f64_f32_e32 v[10:11], v14
	v_cvt_f64_f32_e32 v[12:13], v12
	v_mul_f64 v[2:3], v[2:3], s[2:3]
	v_mul_f64 v[4:5], v[4:5], s[2:3]
	v_mul_f64 v[6:7], v[6:7], s[2:3]
	v_mul_f64 v[8:9], v[8:9], s[2:3]
	v_mul_f64 v[10:11], v[10:11], s[2:3]
	v_mul_f64 v[12:13], v[12:13], s[2:3]
	v_add_co_u32_e32 v14, vcc, s4, v0
	v_cvt_f32_f64_e32 v2, v[2:3]
	v_cvt_f32_f64_e32 v3, v[4:5]
	v_cvt_f32_f64_e32 v4, v[6:7]
	v_cvt_f32_f64_e32 v5, v[8:9]
	v_cvt_f32_f64_e32 v6, v[10:11]
	v_cvt_f32_f64_e32 v7, v[12:13]
	v_addc_co_u32_e32 v15, vcc, v1, v16, vcc
	global_store_dwordx2 v[0:1], v[2:3], off
	global_store_dwordx2 v[14:15], v[4:5], off
	v_add_co_u32_e32 v0, vcc, s4, v14
	v_addc_co_u32_e32 v1, vcc, v15, v16, vcc
	global_store_dwordx2 v[0:1], v[6:7], off
.LBB0_31:
	s_endpgm
	.section	.rodata,"a",@progbits
	.p2align	6, 0x0
	.amdhsa_kernel bluestein_single_fwd_len630_dim1_sp_op_CI_CI
		.amdhsa_group_segment_fixed_size 5040
		.amdhsa_private_segment_fixed_size 0
		.amdhsa_kernarg_size 104
		.amdhsa_user_sgpr_count 6
		.amdhsa_user_sgpr_private_segment_buffer 1
		.amdhsa_user_sgpr_dispatch_ptr 0
		.amdhsa_user_sgpr_queue_ptr 0
		.amdhsa_user_sgpr_kernarg_segment_ptr 1
		.amdhsa_user_sgpr_dispatch_id 0
		.amdhsa_user_sgpr_flat_scratch_init 0
		.amdhsa_user_sgpr_private_segment_size 0
		.amdhsa_uses_dynamic_stack 0
		.amdhsa_system_sgpr_private_segment_wavefront_offset 0
		.amdhsa_system_sgpr_workgroup_id_x 1
		.amdhsa_system_sgpr_workgroup_id_y 0
		.amdhsa_system_sgpr_workgroup_id_z 0
		.amdhsa_system_sgpr_workgroup_info 0
		.amdhsa_system_vgpr_workitem_id 0
		.amdhsa_next_free_vgpr 153
		.amdhsa_next_free_sgpr 20
		.amdhsa_reserve_vcc 1
		.amdhsa_reserve_flat_scratch 0
		.amdhsa_float_round_mode_32 0
		.amdhsa_float_round_mode_16_64 0
		.amdhsa_float_denorm_mode_32 3
		.amdhsa_float_denorm_mode_16_64 3
		.amdhsa_dx10_clamp 1
		.amdhsa_ieee_mode 1
		.amdhsa_fp16_overflow 0
		.amdhsa_exception_fp_ieee_invalid_op 0
		.amdhsa_exception_fp_denorm_src 0
		.amdhsa_exception_fp_ieee_div_zero 0
		.amdhsa_exception_fp_ieee_overflow 0
		.amdhsa_exception_fp_ieee_underflow 0
		.amdhsa_exception_fp_ieee_inexact 0
		.amdhsa_exception_int_div_zero 0
	.end_amdhsa_kernel
	.text
.Lfunc_end0:
	.size	bluestein_single_fwd_len630_dim1_sp_op_CI_CI, .Lfunc_end0-bluestein_single_fwd_len630_dim1_sp_op_CI_CI
                                        ; -- End function
	.section	.AMDGPU.csdata,"",@progbits
; Kernel info:
; codeLenInByte = 11220
; NumSgprs: 24
; NumVgprs: 153
; ScratchSize: 0
; MemoryBound: 0
; FloatMode: 240
; IeeeMode: 1
; LDSByteSize: 5040 bytes/workgroup (compile time only)
; SGPRBlocks: 2
; VGPRBlocks: 38
; NumSGPRsForWavesPerEU: 24
; NumVGPRsForWavesPerEU: 153
; Occupancy: 1
; WaveLimiterHint : 1
; COMPUTE_PGM_RSRC2:SCRATCH_EN: 0
; COMPUTE_PGM_RSRC2:USER_SGPR: 6
; COMPUTE_PGM_RSRC2:TRAP_HANDLER: 0
; COMPUTE_PGM_RSRC2:TGID_X_EN: 1
; COMPUTE_PGM_RSRC2:TGID_Y_EN: 0
; COMPUTE_PGM_RSRC2:TGID_Z_EN: 0
; COMPUTE_PGM_RSRC2:TIDIG_COMP_CNT: 0
	.type	__hip_cuid_94a5811fe362db87,@object ; @__hip_cuid_94a5811fe362db87
	.section	.bss,"aw",@nobits
	.globl	__hip_cuid_94a5811fe362db87
__hip_cuid_94a5811fe362db87:
	.byte	0                               ; 0x0
	.size	__hip_cuid_94a5811fe362db87, 1

	.ident	"AMD clang version 19.0.0git (https://github.com/RadeonOpenCompute/llvm-project roc-6.4.0 25133 c7fe45cf4b819c5991fe208aaa96edf142730f1d)"
	.section	".note.GNU-stack","",@progbits
	.addrsig
	.addrsig_sym __hip_cuid_94a5811fe362db87
	.amdgpu_metadata
---
amdhsa.kernels:
  - .args:
      - .actual_access:  read_only
        .address_space:  global
        .offset:         0
        .size:           8
        .value_kind:     global_buffer
      - .actual_access:  read_only
        .address_space:  global
        .offset:         8
        .size:           8
        .value_kind:     global_buffer
      - .actual_access:  read_only
        .address_space:  global
        .offset:         16
        .size:           8
        .value_kind:     global_buffer
      - .actual_access:  read_only
        .address_space:  global
        .offset:         24
        .size:           8
        .value_kind:     global_buffer
      - .actual_access:  read_only
        .address_space:  global
        .offset:         32
        .size:           8
        .value_kind:     global_buffer
      - .offset:         40
        .size:           8
        .value_kind:     by_value
      - .address_space:  global
        .offset:         48
        .size:           8
        .value_kind:     global_buffer
      - .address_space:  global
        .offset:         56
        .size:           8
        .value_kind:     global_buffer
      - .address_space:  global
        .offset:         64
        .size:           8
        .value_kind:     global_buffer
      - .address_space:  global
        .offset:         72
        .size:           8
        .value_kind:     global_buffer
      - .offset:         80
        .size:           4
        .value_kind:     by_value
      - .address_space:  global
        .offset:         88
        .size:           8
        .value_kind:     global_buffer
      - .address_space:  global
        .offset:         96
        .size:           8
        .value_kind:     global_buffer
    .group_segment_fixed_size: 5040
    .kernarg_segment_align: 8
    .kernarg_segment_size: 104
    .language:       OpenCL C
    .language_version:
      - 2
      - 0
    .max_flat_workgroup_size: 63
    .name:           bluestein_single_fwd_len630_dim1_sp_op_CI_CI
    .private_segment_fixed_size: 0
    .sgpr_count:     24
    .sgpr_spill_count: 0
    .symbol:         bluestein_single_fwd_len630_dim1_sp_op_CI_CI.kd
    .uniform_work_group_size: 1
    .uses_dynamic_stack: false
    .vgpr_count:     153
    .vgpr_spill_count: 0
    .wavefront_size: 64
amdhsa.target:   amdgcn-amd-amdhsa--gfx906
amdhsa.version:
  - 1
  - 2
...

	.end_amdgpu_metadata
